;; amdgpu-corpus repo=zjin-lcf/HeCBench kind=compiled arch=gfx950 opt=O3
	.amdgcn_target "amdgcn-amd-amdhsa--gfx950"
	.amdhsa_code_object_version 6
	.text
	.protected	_Z6lookupPKiPKdS0_PiS0_S2_PK6WindowPK4Poleiiiiii ; -- Begin function _Z6lookupPKiPKdS0_PiS0_S2_PK6WindowPK4Poleiiiiii
	.globl	_Z6lookupPKiPKdS0_PiS0_S2_PK6WindowPK4Poleiiiiii
	.p2align	8
	.type	_Z6lookupPKiPKdS0_PiS0_S2_PK6WindowPK4Poleiiiiii,@function
_Z6lookupPKiPKdS0_PiS0_S2_PK6WindowPK4Poleiiiiii: ; @_Z6lookupPKiPKdS0_PiS0_S2_PK6WindowPK4Poleiiiiii
; %bb.0:
	s_load_dword s5, s[2:3], 0x64
	s_load_dwordx4 s[12:15], s[2:3], 0x40
	v_and_b32_e32 v8, 0x3ff, v0
	v_mov_b32_e32 v13, 0
	s_waitcnt lgkmcnt(0)
	s_and_b32 s5, s5, 0xffff
	s_mul_i32 s4, s4, s5
	v_add_u32_e32 v12, s4, v8
	s_ashr_i32 s5, s12, 31
	s_mov_b32 s4, s12
	v_cmp_gt_u64_e32 vcc, s[4:5], v[12:13]
	s_and_saveexec_b64 s[4:5], vcc
	s_cbranch_execz .LBB0_124
; %bb.1:
	s_load_dwordx8 s[4:11], s[2:3], 0x0
	s_load_dwordx4 s[16:19], s[2:3], 0x20
                                        ; implicit-def: $vgpr127 : SGPR spill to VGPR lane
	v_cmp_ne_u32_e32 vcc, 0, v12
	v_mov_b32_e32 v2, 0x4a2bcaa7
	v_mov_b32_e32 v1, 0x45df23cb
	s_waitcnt lgkmcnt(0)
	v_writelane_b32 v127, s16, 0
	s_nop 1
	v_writelane_b32 v127, s17, 1
	v_writelane_b32 v127, s18, 2
	v_writelane_b32 v127, s19, 3
	s_load_dwordx2 s[34:35], s[2:3], 0x38
	s_load_dwordx2 s[16:17], s[2:3], 0x50
	s_waitcnt lgkmcnt(0)
	v_writelane_b32 v127, s16, 4
	s_nop 1
	v_writelane_b32 v127, s17, 5
	s_and_saveexec_b64 s[16:17], vcc
	s_cbranch_execz .LBB0_7
; %bb.2:
	v_lshlrev_b64 v[4:5], 1, v[12:13]
	v_mov_b64_e32 v[2:3], 1
	s_mov_b64 s[18:19], 0
	s_mov_b32 s24, 0x26f19d38
	s_mov_b32 s12, 0xe48e2825
	s_mov_b64 s[20:21], 1
	v_mov_b64_e32 v[6:7], 0
	s_branch .LBB0_4
.LBB0_3:                                ;   in Loop: Header=BB0_4 Depth=1
	s_or_b64 exec, exec, s[22:23]
	s_add_u32 s22, s12, 1
	s_addc_u32 s23, s24, 0
	s_mul_i32 s21, s22, s21
	s_mul_hi_u32 s25, s22, s20
	s_add_i32 s21, s25, s21
	s_mul_i32 s23, s23, s20
	s_add_i32 s21, s21, s23
	s_mul_i32 s20, s22, s20
	s_mul_i32 s22, s12, s24
	s_mul_hi_u32 s23, s12, s12
	s_add_i32 s23, s23, s22
	s_add_i32 s24, s23, s22
	v_lshrrev_b64 v[10:11], 1, v[4:5]
	v_cmp_gt_u64_e32 vcc, 2, v[4:5]
	s_mul_i32 s12, s12, s12
	s_or_b64 s[18:19], vcc, s[18:19]
	v_mov_b64_e32 v[4:5], v[10:11]
	s_andn2_b64 exec, exec, s[18:19]
	s_cbranch_execz .LBB0_6
.LBB0_4:                                ; =>This Inner Loop Header: Depth=1
	v_and_b32_e32 v1, 1, v4
	v_cmp_eq_u32_e32 vcc, 1, v1
	s_and_saveexec_b64 s[22:23], vcc
	s_cbranch_execz .LBB0_3
; %bb.5:                                ;   in Loop: Header=BB0_4 Depth=1
	v_mul_lo_u32 v1, s24, v2
	v_mul_lo_u32 v9, s12, v3
	v_mad_u64_u32 v[2:3], s[26:27], s12, v2, 0
	v_mov_b64_e32 v[10:11], s[20:21]
	v_add3_u32 v3, v3, v9, v1
	v_mad_u64_u32 v[10:11], s[26:27], s12, v6, v[10:11]
	v_mul_lo_u32 v1, s12, v7
	v_mul_lo_u32 v6, s24, v6
	v_add3_u32 v11, v6, v11, v1
	v_mov_b64_e32 v[6:7], v[10:11]
	s_branch .LBB0_3
.LBB0_6:
	s_or_b64 exec, exec, s[18:19]
	s_movk_i32 s12, 0x42e
	v_mad_u64_u32 v[4:5], s[18:19], v2, s12, v[6:7]
	v_mov_b32_e32 v2, v5
	v_mad_u64_u32 v[2:3], s[18:19], v3, s12, v[2:3]
	s_mov_b32 s12, 0x26f19d38
	v_mul_lo_u32 v1, v4, s12
	s_mov_b32 s12, 0xe48e2825
	v_mul_lo_u32 v5, v2, s12
	v_mad_u64_u32 v[2:3], s[18:19], v4, s12, 1
	v_add3_u32 v1, v5, v3, v1
	v_and_b32_e32 v1, 0x7fffffff, v1
.LBB0_7:
	s_or_b64 exec, exec, s[16:17]
	s_load_dwordx2 s[2:3], s[2:3], 0x30
	s_mov_b32 s12, 0xe48e2825
	v_mul_lo_u32 v6, v1, s12
	s_waitcnt lgkmcnt(0)
	v_writelane_b32 v127, s2, 6
	s_nop 1
	v_writelane_b32 v127, s3, 7
	v_mad_u64_u32 v[4:5], s[2:3], v2, s12, 1
	s_mov_b32 s2, 0x26f19d38
	s_nop 0
	v_mul_lo_u32 v3, v2, s2
	v_add3_u32 v3, v6, v5, v3
	v_and_b32_e32 v3, 0x7fffffff, v3
	v_cvt_f64_u32_e32 v[6:7], v3
	v_ldexp_f64 v[6:7], v[6:7], 32
	v_cvt_f64_u32_e32 v[4:5], v4
	v_add_f64 v[4:5], v[6:7], v[4:5]
	s_movk_i32 s2, 0xffc1
	v_ldexp_f64 v[4:5], v[4:5], s2
	s_mov_b32 s2, 0x76c8b439
	s_mov_b32 s3, 0x3faa9fbe
	v_cmp_ngt_f64_e32 vcc, s[2:3], v[4:5]
	v_mov_b32_e32 v3, 1
	s_and_saveexec_b64 s[2:3], vcc
	s_cbranch_execz .LBB0_29
; %bb.8:
	s_mov_b32 s16, 0x6872b021
	s_mov_b32 s17, 0x3fd4ed91
	v_cmp_ngt_f64_e32 vcc, s[16:17], v[4:5]
	v_mov_b32_e32 v3, 2
	s_and_saveexec_b64 s[16:17], vcc
	s_cbranch_execz .LBB0_28
; %bb.9:
	s_mov_b32 s18, 0x24dd2f1b
	s_mov_b32 s19, 0x3fdd8106
	v_cmp_ngt_f64_e32 vcc, s[18:19], v[4:5]
	v_mov_b32_e32 v3, 3
	s_and_saveexec_b64 s[18:19], vcc
	s_cbranch_execz .LBB0_27
; %bb.10:
	s_mov_b32 s20, 0x7ae147af
	s_mov_b32 s21, 0x3fe3ae14
	v_cmp_ngt_f64_e32 vcc, s[20:21], v[4:5]
	v_mov_b32_e32 v3, 4
	s_and_saveexec_b64 s[20:21], vcc
	s_cbranch_execz .LBB0_26
; %bb.11:
	s_mov_b32 s22, 0x353f7cee
	s_mov_b32 s23, 0x3fe5ba5e
	v_cmp_ngt_f64_e32 vcc, s[22:23], v[4:5]
	v_mov_b32_e32 v3, 5
	s_and_saveexec_b64 s[22:23], vcc
	s_cbranch_execz .LBB0_25
; %bb.12:
	s_mov_b32 s24, 0x3d70a3d8
	s_mov_b32 s25, 0x3fe7d70a
	v_cmp_ngt_f64_e32 vcc, s[24:25], v[4:5]
	v_mov_b32_e32 v3, 6
	s_and_saveexec_b64 s[24:25], vcc
	s_cbranch_execz .LBB0_24
; %bb.13:
	s_mov_b32 s26, 0x9999999a
	s_mov_b32 s27, 0x3fe99999
	v_cmp_ngt_f64_e32 vcc, s[26:27], v[4:5]
	v_mov_b32_e32 v3, 7
	s_and_saveexec_b64 s[26:27], vcc
	s_cbranch_execz .LBB0_23
; %bb.14:
	s_mov_b32 s28, 0xd0e56042
	s_mov_b32 s29, 0x3fe9db22
	v_cmp_ngt_f64_e32 vcc, s[28:29], v[4:5]
	v_mov_b32_e32 v3, 8
	s_and_saveexec_b64 s[28:29], vcc
	s_cbranch_execz .LBB0_22
; %bb.15:
	s_mov_b32 s30, 0x189374bd
	s_mov_b32 s31, 0x3fea5604
	v_cmp_ngt_f64_e32 vcc, s[30:31], v[4:5]
	v_mov_b32_e32 v3, 9
	s_and_saveexec_b64 s[30:31], vcc
	s_cbranch_execz .LBB0_21
; %bb.16:
	s_mov_b32 s36, 0xe560418a
	s_mov_b32 s37, 0x3feb22d0
	v_cmp_ngt_f64_e32 vcc, s[36:37], v[4:5]
	v_mov_b32_e32 v3, 10
	s_and_saveexec_b64 s[36:37], vcc
	s_cbranch_execz .LBB0_20
; %bb.17:
	s_mov_b32 s38, 0xdf3b645b
	s_mov_b32 s39, 0x3feb8d4f
	v_cmp_ngt_f64_e32 vcc, s[38:39], v[4:5]
	v_mov_b32_e32 v3, 11
	s_and_saveexec_b64 s[38:39], vcc
; %bb.18:
	v_mov_b32_e32 v3, 0
; %bb.19:
	s_or_b64 exec, exec, s[38:39]
.LBB0_20:
	s_or_b64 exec, exec, s[36:37]
.LBB0_21:
	s_or_b64 exec, exec, s[30:31]
.LBB0_22:
	s_or_b64 exec, exec, s[28:29]
.LBB0_23:
	s_or_b64 exec, exec, s[26:27]
.LBB0_24:
	s_or_b64 exec, exec, s[24:25]
.LBB0_25:
	s_or_b64 exec, exec, s[22:23]
.LBB0_26:
	s_or_b64 exec, exec, s[20:21]
.LBB0_27:
	s_or_b64 exec, exec, s[18:19]
.LBB0_28:
	s_or_b64 exec, exec, s[16:17]
.LBB0_29:
	s_or_b64 exec, exec, s[2:3]
	v_lshlrev_b32_e32 v4, 2, v3
	global_load_dword v65, v4, s[4:5]
	s_mov_b32 s18, 0
	v_mov_b64_e32 v[74:75], 0
	v_mov_b64_e32 v[82:83], 0
	v_mov_b64_e32 v[86:87], 0
	v_mov_b64_e32 v[88:89], 0
	s_waitcnt vmcnt(0)
	v_cmp_lt_i32_e32 vcc, 0, v65
	s_and_saveexec_b64 s[4:5], vcc
	s_cbranch_execz .LBB0_123
; %bb.30:
	s_load_dwordx2 s[2:3], s[0:1], 0x4
	v_cvt_f64_u32_e32 v[4:5], v1
	v_ldexp_f64 v[4:5], v[4:5], 32
	v_cvt_f64_u32_e32 v[6:7], v2
	v_add_f64 v[4:5], v[4:5], v[6:7]
	s_movk_i32 s0, 0xffc1
	v_ldexp_f64 v[18:19], v[4:5], s0
	s_waitcnt lgkmcnt(0)
	s_lshr_b32 s0, s2, 16
	s_mul_i32 s0, s0, s3
	s_mov_b32 s42, 0
	v_mul_lo_u32 v1, s0, v8
	v_bfe_u32 v2, v0, 10, 10
	s_brev_b32 s43, 8
	v_mad_u32_u24 v1, v2, s3, v1
	v_bfe_u32 v0, v0, 20, 10
	v_mov_b32_e32 v52, 0x100
	v_cmp_gt_f64_e32 vcc, s[42:43], v[18:19]
	v_add_lshl_u32 v126, v1, v0, 6
	v_writelane_b32 v127, s4, 8
	v_cndmask_b32_e32 v0, 0, v52, vcc
	v_ldexp_f64 v[0:1], v[18:19], v0
	v_rsq_f64_e32 v[4:5], v[0:1]
	v_writelane_b32 v127, s5, 9
	s_cmp_lg_u32 s13, 1
	v_readlane_b32 s0, v127, 4
	v_readlane_b32 s1, v127, 5
	v_mov_b32_e32 v53, 0xffffff80
	v_mov_b32_e32 v54, 0x260
	v_mul_lo_u32 v66, v3, s1
	v_mul_f64 v[2:3], v[0:1], v[4:5]
	v_mul_f64 v[4:5], v[4:5], 0.5
	v_fma_f64 v[6:7], -v[4:5], v[2:3], 0.5
	v_fmac_f64_e32 v[2:3], v[2:3], v[6:7]
	v_fma_f64 v[8:9], -v[2:3], v[2:3], v[0:1]
	v_fmac_f64_e32 v[4:5], v[4:5], v[6:7]
	v_fmac_f64_e32 v[2:3], v[8:9], v[4:5]
	v_fma_f64 v[6:7], -v[2:3], v[2:3], v[0:1]
	s_cselect_b64 s[0:1], -1, 0
	v_fmac_f64_e32 v[2:3], v[6:7], v[4:5]
	v_cndmask_b32_e32 v4, 0, v53, vcc
	v_writelane_b32 v127, s0, 10
	v_ldexp_f64 v[2:3], v[2:3], v4
	v_cmp_class_f64_e32 vcc, v[0:1], v54
	s_mov_b32 s46, 0
	s_mov_b32 s48, 0
	;; [unrolled: 1-line block ×25, first 2 shown]
	scratch_store_dwordx2 off, v[12:13], off offset:216 ; 8-byte Folded Spill
	v_writelane_b32 v127, s1, 11
	s_movk_i32 s19, 0xff80
	v_cndmask_b32_e32 v21, v3, v1, vcc
	v_cndmask_b32_e32 v20, v2, v0, vcc
	v_mul_f64 v[22:23], v[18:19], v[18:19]
	s_mov_b64 s[44:45], 0
	s_mov_b32 s47, 0x41d00000
	s_mov_b32 s49, 0x7b000000
	;; [unrolled: 1-line block ×21, first 2 shown]
	s_brev_b32 s33, 1
	s_movk_i32 s96, 0x1f8
	s_movk_i32 s97, 0x48
	v_mov_b32_e32 v55, 0x40100000
	v_mov_b32_e32 v56, 0x3ff00000
	;; [unrolled: 1-line block ×27, first 2 shown]
	s_mov_b32 s99, 0x3fe065c7
	v_mov_b32_e32 v58, 0x19378e4f
	s_mov_b32 s41, 0xc005cc47
	v_mov_b32_e32 v60, 0x17e1913c
	;; [unrolled: 2-line block ×4, first 2 shown]
	v_mov_b32_e32 v80, 0x55555523
	s_mov_b32 s93, 0x40620000
	v_mov_b32_e32 v68, 0xeeb562d6
	s_mov_b32 s13, 0x40544f92
	v_mov_b32_e32 v25, 0x3e21eeb6
	v_mov_b32_e32 v27, 0xbe927e4f
	v_mov_b32_e32 v29, 0x3efa01a0
	v_mov_b32_e32 v31, 0xbf56c16c
	v_mov_b32_e32 v33, 0x3fa55555
	v_mov_b32_e32 v35, 0xbe5ae600
	v_mov_b32_e32 v37, 0x3ec71de3
	v_mov_b32_e32 v39, 0xbf2a01a0
	v_mov_b32_e32 v41, 0x3f811111
	v_mov_b32_e32 v1, 0xbf23e260
	v_mov_b32_e32 v3, 0x3f4b2bb0
	v_mov_b32_e32 v5, 0xbf67952d
	v_mov_b32_e32 v7, 0x3f7d6d43
	v_mov_b32_e32 v9, 0xbf8c6ea4
	v_mov_b32_e32 v11, 0x3f967e29
	v_mov_b32_e32 v13, 0xbf9e9ae6
	v_mov_b32_e32 v15, 0x3fa2c15b
	v_mov_b32_e32 v17, 0xbfa59976
	v_mov_b32_e32 v43, 0x3fa82d5d
	v_mov_b32_e32 v45, 0xbfaae5ce
	v_mov_b32_e32 v47, 0x3fae1bb4
	v_mov_b32_e32 v49, 0xbfb110e4
	v_mov_b32_e32 v51, 0x3fb3b136
	v_mov_b32_e32 v59, 0xbfb745d1
	v_mov_b32_e32 v61, 0x3fbc71c7
	v_mov_b32_e32 v63, 0xbfc24924
	v_mov_b32_e32 v79, 0x3fc99999
	v_mov_b32_e32 v81, 0xbfd55555
	v_mov_b32_e32 v69, 0x3ffaf154
	v_mov_b64_e32 v[74:75], 0
	v_mov_b32_e32 v90, 0
	v_mov_b64_e32 v[82:83], 0
	v_mov_b64_e32 v[86:87], 0
	;; [unrolled: 1-line block ×3, first 2 shown]
	scratch_store_dwordx2 off, v[0:1], off offset:64 ; 8-byte Folded Spill
	scratch_store_dwordx2 off, v[2:3], off offset:72 ; 8-byte Folded Spill
	;; [unrolled: 1-line block ×18, first 2 shown]
	scratch_store_dword off, v65, off offset:208 ; 4-byte Folded Spill
	scratch_store_dword off, v66, off offset:212 ; 4-byte Folded Spill
	s_branch .LBB0_34
.LBB0_31:                               ;   in Loop: Header=BB0_34 Depth=1
	s_or_b64 exec, exec, s[88:89]
	scratch_load_dword v65, off, off offset:208 ; 4-byte Folded Reload
	scratch_load_dword v66, off, off offset:212 ; 4-byte Folded Reload
	v_mov_b32_e32 v67, 0xfff80000
.LBB0_32:                               ;   in Loop: Header=BB0_34 Depth=1
	s_or_b64 exec, exec, s[38:39]
	v_add_f64 v[2:3], v[102:103], -v[104:105]
.LBB0_33:                               ;   in Loop: Header=BB0_34 Depth=1
	v_lshl_add_u64 v[4:5], v[94:95], 3, s[6:7]
	global_load_dwordx2 v[4:5], v[4:5], off
	s_add_i32 s18, s18, 1
	s_waitcnt vmcnt(2)
	v_cmp_eq_u32_e32 vcc, s18, v65
	s_or_b64 s[44:45], vcc, s[44:45]
	s_waitcnt vmcnt(0)
	v_fmac_f64_e32 v[88:89], v[102:103], v[4:5]
	v_fmac_f64_e32 v[86:87], v[104:105], v[4:5]
	;; [unrolled: 1-line block ×4, first 2 shown]
	s_andn2_b64 exec, exec, s[44:45]
	s_cbranch_execz .LBB0_122
.LBB0_34:                               ; =>This Loop Header: Depth=1
                                        ;     Child Loop BB0_69 Depth 2
                                        ;     Child Loop BB0_108 Depth 2
                                        ;       Child Loop BB0_120 Depth 3
	v_add_u32_e32 v94, s18, v66
	v_ashrrev_i32_e32 v95, 31, v94
	v_lshl_add_u64 v[0:1], v[94:95], 2, s[8:9]
	global_load_dword v96, v[0:1], off
	v_readlane_b32 s0, v127, 0
	v_readlane_b32 s1, v127, 1
	;; [unrolled: 1-line block ×6, first 2 shown]
                                        ; implicit-def: $vgpr102_vgpr103
                                        ; implicit-def: $vgpr104_vgpr105
	s_waitcnt vmcnt(0)
	v_ashrrev_i32_e32 v97, 31, v96
	v_lshl_add_u64 v[0:1], v[96:97], 2, s[0:1]
	global_load_dword v10, v[0:1], off
	s_waitcnt vmcnt(0)
	v_cvt_f64_i32_e32 v[0:1], v10
	v_div_scale_f64 v[2:3], s[0:1], v[0:1], v[0:1], 1.0
	v_rcp_f64_e32 v[4:5], v[2:3]
	s_nop 0
	v_fma_f64 v[6:7], -v[2:3], v[4:5], 1.0
	v_fmac_f64_e32 v[4:5], v[4:5], v[6:7]
	v_fma_f64 v[6:7], -v[2:3], v[4:5], 1.0
	v_fmac_f64_e32 v[4:5], v[4:5], v[6:7]
	v_div_scale_f64 v[6:7], vcc, 1.0, v[0:1], 1.0
	v_mul_f64 v[8:9], v[6:7], v[4:5]
	v_fma_f64 v[2:3], -v[2:3], v[8:9], v[6:7]
	s_nop 1
	v_div_fmas_f64 v[2:3], v[2:3], v[4:5], v[8:9]
	v_div_fixup_f64 v[0:1], v[2:3], v[0:1], 1.0
	v_div_scale_f64 v[2:3], s[0:1], v[0:1], v[0:1], v[18:19]
	v_rcp_f64_e32 v[4:5], v[2:3]
	s_nop 0
	v_fma_f64 v[6:7], -v[2:3], v[4:5], 1.0
	v_fmac_f64_e32 v[4:5], v[4:5], v[6:7]
	v_fma_f64 v[6:7], -v[2:3], v[4:5], 1.0
	v_fmac_f64_e32 v[4:5], v[4:5], v[6:7]
	v_div_scale_f64 v[6:7], vcc, v[18:19], v[0:1], v[18:19]
	v_mul_f64 v[8:9], v[6:7], v[4:5]
	v_fma_f64 v[2:3], -v[2:3], v[8:9], v[6:7]
	s_nop 1
	v_div_fmas_f64 v[2:3], v[2:3], v[4:5], v[8:9]
	v_div_fixup_f64 v[0:1], v[2:3], v[0:1], v[18:19]
	v_cvt_i32_f64_e32 v98, v[0:1]
	v_mul_lo_u32 v0, v96, s14
	v_ashrrev_i32_e32 v1, 31, v0
	v_cmp_eq_u32_e64 s[0:1], v10, v98
	v_lshl_add_u64 v[100:101], v[0:1], 3, s[2:3]
	s_mov_b64 s[2:3], -1
	s_and_b64 vcc, exec, s[4:5]
                                        ; implicit-def: $vgpr0_vgpr1
                                        ; implicit-def: $vgpr2_vgpr3
	s_cbranch_vccz .LBB0_72
; %bb.35:                               ;   in Loop: Header=BB0_34 Depth=1
	global_load_dwordx2 v[0:1], v[100:101], off
                                        ; implicit-def: $vgpr15
                                        ; implicit-def: $vgpr10_vgpr11
                                        ; implicit-def: $vgpr12_vgpr13
	s_waitcnt vmcnt(0)
	v_mul_f64 v[0:1], v[20:21], v[0:1]
	v_add_f64 v[0:1], v[0:1], v[0:1]
	v_cmp_nlt_f64_e64 s[4:5], |v[0:1]|, s[46:47]
	v_trig_preop_f64 v[6:7], |v[0:1]|, 0
	v_trig_preop_f64 v[4:5], |v[0:1]|, 1
	v_ldexp_f64 v[8:9], |v[0:1]|, s19
	v_trig_preop_f64 v[2:3], |v[0:1]|, 2
	v_and_b32_e32 v14, 0x7fffffff, v1
	s_and_saveexec_b64 s[2:3], s[4:5]
	s_xor_b64 s[16:17], exec, s[2:3]
	s_cbranch_execz .LBB0_37
; %bb.36:                               ;   in Loop: Header=BB0_34 Depth=1
	v_cmp_ge_f64_e64 vcc, |v[0:1]|, s[48:49]
	s_nop 1
	v_cndmask_b32_e32 v11, v14, v9, vcc
	v_cndmask_b32_e32 v10, v0, v8, vcc
	v_mul_f64 v[16:17], v[6:7], v[10:11]
	v_mul_f64 v[12:13], v[4:5], v[10:11]
	v_fma_f64 v[42:43], v[6:7], v[10:11], -v[16:17]
	v_add_f64 v[44:45], v[12:13], v[42:43]
	v_add_f64 v[58:59], v[44:45], -v[12:13]
	v_add_f64 v[42:43], v[42:43], -v[58:59]
	;; [unrolled: 1-line block ×4, first 2 shown]
	v_add_f64 v[42:43], v[42:43], v[58:59]
	v_fma_f64 v[12:13], v[4:5], v[10:11], -v[12:13]
	v_mul_f64 v[58:59], v[2:3], v[10:11]
	v_add_f64 v[60:61], v[58:59], v[12:13]
	v_add_f64 v[46:47], v[16:17], v[44:45]
	;; [unrolled: 1-line block ×3, first 2 shown]
	v_ldexp_f64 v[48:49], v[46:47], -2
	v_add_f64 v[16:17], v[46:47], -v[16:17]
	v_add_f64 v[46:47], v[62:63], -v[60:61]
	;; [unrolled: 1-line block ×5, first 2 shown]
	v_add_f64 v[42:43], v[42:43], v[46:47]
	v_add_f64 v[46:47], v[60:61], -v[58:59]
	v_add_f64 v[12:13], v[12:13], -v[46:47]
	;; [unrolled: 1-line block ×5, first 2 shown]
	v_add_f64 v[12:13], v[12:13], v[46:47]
	v_fract_f64_e32 v[50:51], v[48:49]
	v_add_f64 v[44:45], v[16:17], v[62:63]
	v_add_f64 v[12:13], v[12:13], v[42:43]
	v_fma_f64 v[10:11], v[2:3], v[10:11], -v[58:59]
	v_add_f64 v[16:17], v[44:45], -v[16:17]
	v_add_f64 v[10:11], v[10:11], v[12:13]
	v_ldexp_f64 v[12:13], v[50:51], 2
	v_cmp_neq_f64_e64 vcc, |v[48:49]|, s[50:51]
	v_add_f64 v[16:17], v[62:63], -v[16:17]
	v_add_f64 v[10:11], v[16:17], v[10:11]
	v_cndmask_b32_e32 v13, 0, v13, vcc
	v_cndmask_b32_e32 v12, 0, v12, vcc
	v_add_f64 v[16:17], v[44:45], v[12:13]
	v_cmp_gt_f64_e32 vcc, 0, v[16:17]
	s_nop 1
	v_cndmask_b32_e32 v91, 0, v55, vcc
	v_add_f64 v[12:13], v[12:13], v[90:91]
	v_add_f64 v[16:17], v[44:45], v[12:13]
	v_cvt_i32_f64_e32 v15, v[16:17]
	v_cvt_f64_i32_e32 v[16:17], v15
	v_add_f64 v[12:13], v[12:13], -v[16:17]
	v_add_f64 v[16:17], v[44:45], v[12:13]
	v_add_f64 v[12:13], v[16:17], -v[12:13]
	v_cmp_le_f64_e32 vcc, 0.5, v[16:17]
	v_add_f64 v[12:13], v[44:45], -v[12:13]
	v_add_f64 v[10:11], v[10:11], v[12:13]
	v_cndmask_b32_e32 v91, 0, v56, vcc
	v_add_f64 v[12:13], v[16:17], -v[90:91]
	v_add_f64 v[16:17], v[12:13], v[10:11]
	v_add_f64 v[12:13], v[16:17], -v[12:13]
	v_add_f64 v[10:11], v[10:11], -v[12:13]
	v_mul_f64 v[12:13], v[16:17], s[52:53]
	v_fma_f64 v[42:43], v[16:17], s[52:53], -v[12:13]
	v_fmac_f64_e32 v[42:43], s[54:55], v[16:17]
	v_fmac_f64_e32 v[42:43], s[52:53], v[10:11]
	v_add_f64 v[10:11], v[12:13], v[42:43]
	v_add_f64 v[12:13], v[10:11], -v[12:13]
	v_addc_co_u32_e64 v15, s[2:3], 0, v15, vcc
	v_add_f64 v[12:13], v[42:43], -v[12:13]
.LBB0_37:                               ;   in Loop: Header=BB0_34 Depth=1
	s_andn2_saveexec_b64 s[2:3], s[16:17]
	s_cbranch_execz .LBB0_39
; %bb.38:                               ;   in Loop: Header=BB0_34 Depth=1
	v_mul_f64 v[10:11], |v[0:1]|, s[56:57]
	v_rndne_f64_e32 v[16:17], v[10:11]
	s_mov_b32 s58, s52
	v_fma_f64 v[10:11], v[16:17], s[58:59], |v[0:1]|
	v_mul_f64 v[42:43], v[16:17], s[60:61]
	v_add_f64 v[46:47], v[10:11], v[42:43]
	v_fma_f64 v[12:13], s[60:61], v[16:17], v[10:11]
	s_mov_b32 s16, s60
	s_mov_b32 s17, s55
	v_add_f64 v[10:11], v[10:11], -v[46:47]
	v_fma_f64 v[44:45], s[16:17], v[16:17], v[42:43]
	v_add_f64 v[10:11], v[10:11], v[42:43]
	v_add_f64 v[42:43], v[46:47], -v[12:13]
	v_add_f64 v[10:11], v[42:43], v[10:11]
	v_add_f64 v[42:43], v[10:11], -v[44:45]
	v_fmac_f64_e32 v[42:43], s[62:63], v[16:17]
	v_add_f64 v[10:11], v[12:13], v[42:43]
	v_add_f64 v[12:13], v[10:11], -v[12:13]
	v_add_f64 v[12:13], v[42:43], -v[12:13]
	v_cvt_i32_f64_e32 v15, v[16:17]
.LBB0_39:                               ;   in Loop: Header=BB0_34 Depth=1
	s_or_b64 exec, exec, s[2:3]
	v_mul_f64 v[16:17], v[10:11], v[10:11]
	v_mov_b64_e32 v[48:49], v[24:25]
	v_mul_f64 v[42:43], v[16:17], 0.5
	v_fmac_f64_e32 v[48:49], s[66:67], v[16:17]
	v_mov_b64_e32 v[50:51], v[26:27]
	v_add_f64 v[44:45], -v[42:43], 1.0
	v_fmac_f64_e32 v[50:51], v[16:17], v[48:49]
	v_mov_b64_e32 v[48:49], v[28:29]
	v_add_f64 v[46:47], -v[44:45], 1.0
	v_fmac_f64_e32 v[48:49], v[16:17], v[50:51]
	v_mov_b64_e32 v[50:51], v[30:31]
	v_add_f64 v[42:43], v[46:47], -v[42:43]
	v_fmac_f64_e32 v[50:51], v[16:17], v[48:49]
	v_mov_b64_e32 v[48:49], v[32:33]
	v_mul_f64 v[46:47], v[16:17], v[16:17]
	v_fmac_f64_e32 v[48:49], v[16:17], v[50:51]
	v_fma_f64 v[42:43], v[10:11], -v[12:13], v[42:43]
	v_fmac_f64_e32 v[42:43], v[46:47], v[48:49]
	v_add_f64 v[42:43], v[44:45], v[42:43]
	v_mov_b64_e32 v[44:45], v[34:35]
	v_fmac_f64_e32 v[44:45], s[80:81], v[16:17]
	v_mov_b64_e32 v[46:47], v[36:37]
	v_fmac_f64_e32 v[46:47], v[16:17], v[44:45]
	;; [unrolled: 2-line block ×4, first 2 shown]
	v_mul_f64 v[44:45], v[10:11], -v[16:17]
	v_mul_f64 v[48:49], v[12:13], 0.5
	v_fmac_f64_e32 v[48:49], v[44:45], v[46:47]
	v_fma_f64 v[12:13], v[16:17], v[48:49], -v[12:13]
	v_fmac_f64_e32 v[12:13], s[76:77], v[44:45]
	v_add_f64 v[10:11], v[10:11], -v[12:13]
	v_and_b32_e32 v12, 1, v15
	v_xor_b32_e32 v11, 0x80000000, v11
	v_cmp_eq_u32_e32 vcc, 0, v12
	v_lshlrev_b32_e32 v12, 30, v15
                                        ; implicit-def: $vgpr15
	s_nop 0
	v_cndmask_b32_e32 v11, v11, v43, vcc
	v_cndmask_b32_e32 v10, v10, v42, vcc
	v_bitop3_b32 v11, v11, v12, s33 bitop3:0x78
	v_cmp_class_f64_e64 vcc, v[0:1], s96
                                        ; implicit-def: $vgpr12_vgpr13
	s_nop 1
	v_cndmask_b32_e32 v10, 0, v10, vcc
	v_cndmask_b32_e32 v11, v57, v11, vcc
	ds_write_b64 v126, v[10:11]
                                        ; implicit-def: $vgpr10_vgpr11
	s_and_saveexec_b64 s[2:3], s[4:5]
	s_xor_b64 s[16:17], exec, s[2:3]
	s_cbranch_execz .LBB0_41
; %bb.40:                               ;   in Loop: Header=BB0_34 Depth=1
	v_cmp_ge_f64_e64 s[2:3], |v[0:1]|, s[48:49]
	s_nop 1
	v_cndmask_b32_e64 v9, v14, v9, s[2:3]
	v_cndmask_b32_e64 v8, v0, v8, s[2:3]
	v_mul_f64 v[12:13], v[6:7], v[8:9]
	v_mul_f64 v[10:11], v[4:5], v[8:9]
	v_fma_f64 v[6:7], v[6:7], v[8:9], -v[12:13]
	v_add_f64 v[14:15], v[10:11], v[6:7]
	v_add_f64 v[46:47], v[14:15], -v[10:11]
	v_add_f64 v[6:7], v[6:7], -v[46:47]
	;; [unrolled: 1-line block ×4, first 2 shown]
	v_fma_f64 v[4:5], v[4:5], v[8:9], -v[10:11]
	v_mul_f64 v[10:11], v[2:3], v[8:9]
	v_add_f64 v[6:7], v[6:7], v[46:47]
	v_add_f64 v[46:47], v[10:11], v[4:5]
	;; [unrolled: 1-line block ×4, first 2 shown]
	v_ldexp_f64 v[42:43], v[16:17], -2
	v_add_f64 v[12:13], v[16:17], -v[12:13]
	v_add_f64 v[16:17], v[48:49], -v[46:47]
	v_add_f64 v[6:7], v[6:7], -v[16:17]
	v_add_f64 v[16:17], v[48:49], -v[16:17]
	v_add_f64 v[16:17], v[46:47], -v[16:17]
	v_add_f64 v[6:7], v[6:7], v[16:17]
	v_add_f64 v[16:17], v[46:47], -v[10:11]
	v_add_f64 v[4:5], v[4:5], -v[16:17]
	;; [unrolled: 1-line block ×4, first 2 shown]
	v_add_f64 v[4:5], v[4:5], v[16:17]
	v_fract_f64_e32 v[44:45], v[42:43]
	v_add_f64 v[4:5], v[4:5], v[6:7]
	v_fma_f64 v[2:3], v[2:3], v[8:9], -v[10:11]
	v_add_f64 v[12:13], v[14:15], -v[12:13]
	v_add_f64 v[2:3], v[2:3], v[4:5]
	v_ldexp_f64 v[4:5], v[44:45], 2
	v_cmp_neq_f64_e64 s[2:3], |v[42:43]|, s[50:51]
	v_add_f64 v[14:15], v[12:13], v[48:49]
	v_add_f64 v[12:13], v[14:15], -v[12:13]
	v_cndmask_b32_e64 v5, 0, v5, s[2:3]
	v_cndmask_b32_e64 v4, 0, v4, s[2:3]
	v_add_f64 v[6:7], v[14:15], v[4:5]
	v_cmp_gt_f64_e64 s[2:3], 0, v[6:7]
	v_add_f64 v[12:13], v[48:49], -v[12:13]
	v_add_f64 v[2:3], v[12:13], v[2:3]
	v_cndmask_b32_e64 v91, 0, v55, s[2:3]
	v_add_f64 v[4:5], v[4:5], v[90:91]
	v_add_f64 v[6:7], v[14:15], v[4:5]
	v_cvt_i32_f64_e32 v8, v[6:7]
	v_cvt_f64_i32_e32 v[6:7], v8
	v_add_f64 v[4:5], v[4:5], -v[6:7]
	v_add_f64 v[6:7], v[14:15], v[4:5]
	v_add_f64 v[4:5], v[6:7], -v[4:5]
	v_cmp_le_f64_e64 s[2:3], 0.5, v[6:7]
	v_add_f64 v[4:5], v[14:15], -v[4:5]
	v_add_f64 v[2:3], v[2:3], v[4:5]
	v_cndmask_b32_e64 v91, 0, v56, s[2:3]
	v_add_f64 v[4:5], v[6:7], -v[90:91]
	v_add_f64 v[6:7], v[4:5], v[2:3]
	v_add_f64 v[4:5], v[6:7], -v[4:5]
	v_add_f64 v[2:3], v[2:3], -v[4:5]
	v_mul_f64 v[4:5], v[6:7], s[52:53]
	v_addc_co_u32_e64 v15, s[4:5], 0, v8, s[2:3]
	v_fma_f64 v[8:9], v[6:7], s[52:53], -v[4:5]
	v_fmac_f64_e32 v[8:9], s[54:55], v[6:7]
	v_fmac_f64_e32 v[8:9], s[52:53], v[2:3]
	v_add_f64 v[10:11], v[4:5], v[8:9]
	v_add_f64 v[2:3], v[10:11], -v[4:5]
	v_add_f64 v[12:13], v[8:9], -v[2:3]
.LBB0_41:                               ;   in Loop: Header=BB0_34 Depth=1
	s_andn2_saveexec_b64 s[2:3], s[16:17]
	s_cbranch_execz .LBB0_43
; %bb.42:                               ;   in Loop: Header=BB0_34 Depth=1
	v_mul_f64 v[2:3], |v[0:1]|, s[56:57]
	v_rndne_f64_e32 v[2:3], v[2:3]
	s_mov_b32 s58, s52
	v_fma_f64 v[4:5], v[2:3], s[58:59], |v[0:1]|
	v_mul_f64 v[8:9], v[2:3], s[60:61]
	v_add_f64 v[12:13], v[4:5], v[8:9]
	v_fma_f64 v[6:7], s[60:61], v[2:3], v[4:5]
	s_mov_b32 s4, s60
	s_mov_b32 s5, s55
	v_add_f64 v[4:5], v[4:5], -v[12:13]
	v_fma_f64 v[10:11], s[4:5], v[2:3], v[8:9]
	v_add_f64 v[4:5], v[4:5], v[8:9]
	v_add_f64 v[8:9], v[12:13], -v[6:7]
	v_add_f64 v[4:5], v[8:9], v[4:5]
	v_add_f64 v[4:5], v[4:5], -v[10:11]
	v_fmac_f64_e32 v[4:5], s[62:63], v[2:3]
	v_add_f64 v[10:11], v[6:7], v[4:5]
	v_add_f64 v[6:7], v[10:11], -v[6:7]
	v_add_f64 v[12:13], v[4:5], -v[6:7]
	v_cvt_i32_f64_e32 v15, v[2:3]
.LBB0_43:                               ;   in Loop: Header=BB0_34 Depth=1
	s_or_b64 exec, exec, s[2:3]
	v_mul_f64 v[2:3], v[10:11], v[10:11]
	v_mov_b64_e32 v[16:17], v[24:25]
	v_mul_f64 v[4:5], v[2:3], 0.5
	v_fmac_f64_e32 v[16:17], s[66:67], v[2:3]
	v_mov_b64_e32 v[42:43], v[26:27]
	v_add_f64 v[6:7], -v[4:5], 1.0
	v_fmac_f64_e32 v[42:43], v[2:3], v[16:17]
	v_mov_b64_e32 v[16:17], v[28:29]
	v_add_f64 v[8:9], -v[6:7], 1.0
	v_fmac_f64_e32 v[16:17], v[2:3], v[42:43]
	v_mov_b64_e32 v[42:43], v[30:31]
	v_add_f64 v[4:5], v[8:9], -v[4:5]
	v_fmac_f64_e32 v[42:43], v[2:3], v[16:17]
	v_mov_b64_e32 v[16:17], v[32:33]
	v_mul_f64 v[8:9], v[2:3], v[2:3]
	v_fmac_f64_e32 v[16:17], v[2:3], v[42:43]
	v_fma_f64 v[4:5], v[10:11], -v[12:13], v[4:5]
	v_fmac_f64_e32 v[4:5], v[8:9], v[16:17]
	v_add_f64 v[4:5], v[6:7], v[4:5]
	v_mov_b64_e32 v[6:7], v[34:35]
	v_fmac_f64_e32 v[6:7], s[80:81], v[2:3]
	v_mov_b64_e32 v[8:9], v[36:37]
	v_fmac_f64_e32 v[8:9], v[2:3], v[6:7]
	;; [unrolled: 2-line block ×4, first 2 shown]
	v_mul_f64 v[6:7], v[10:11], -v[2:3]
	v_mul_f64 v[16:17], v[12:13], 0.5
	v_fmac_f64_e32 v[16:17], v[6:7], v[8:9]
	v_fma_f64 v[2:3], v[2:3], v[16:17], -v[12:13]
	v_fmac_f64_e32 v[2:3], s[76:77], v[6:7]
	v_and_b32_e32 v0, 1, v15
	v_add_f64 v[2:3], v[10:11], -v[2:3]
	v_cmp_eq_u32_e64 s[2:3], 0, v0
	s_nop 1
	v_cndmask_b32_e64 v0, v4, v2, s[2:3]
	v_cndmask_b32_e64 v2, v5, v3, s[2:3]
	v_lshlrev_b32_e32 v3, 30, v15
	v_xor_b32_e32 v1, v3, v1
	v_bitop3_b32 v1, v2, v1, s33 bitop3:0x78
	v_cndmask_b32_e32 v0, 0, v0, vcc
	v_cndmask_b32_e64 v1, v67, -v1, vcc
	ds_write_b64 v126, v[0:1] offset:8
	global_load_dwordx2 v[0:1], v[100:101], off offset:8
                                        ; implicit-def: $vgpr15
	s_waitcnt vmcnt(0)
	v_mul_f64 v[2:3], v[20:21], v[0:1]
	v_and_b32_e32 v5, 0x7fffffff, v3
	v_mov_b32_e32 v4, v2
	v_div_scale_f64 v[6:7], s[4:5], v[4:5], v[4:5], 1.0
	v_rcp_f64_e32 v[8:9], v[6:7]
	v_cmp_gt_f64_e64 s[2:3], |v[2:3]|, 1.0
	s_mov_b32 s4, 0xb5e68a13
	s_mov_b32 s5, 0x3eeba404
	v_fma_f64 v[10:11], -v[6:7], v[8:9], 1.0
	v_fmac_f64_e32 v[8:9], v[8:9], v[10:11]
	v_fma_f64 v[10:11], -v[6:7], v[8:9], 1.0
	v_fmac_f64_e32 v[8:9], v[8:9], v[10:11]
	v_div_scale_f64 v[10:11], vcc, 1.0, v[4:5], 1.0
	v_mul_f64 v[12:13], v[10:11], v[8:9]
	v_fma_f64 v[6:7], -v[6:7], v[12:13], v[10:11]
	scratch_load_dwordx2 v[10:11], off, off offset:72 ; 8-byte Folded Reload
	s_nop 0
	v_div_fmas_f64 v[6:7], v[6:7], v[8:9], v[12:13]
	scratch_load_dwordx2 v[8:9], off, off offset:64 ; 8-byte Folded Reload
	scratch_load_dwordx2 v[12:13], off, off offset:192 ; 8-byte Folded Reload
	v_div_fixup_f64 v[6:7], v[6:7], |v[2:3]|, 1.0
	v_cndmask_b32_e64 v5, v5, v7, s[2:3]
	v_cndmask_b32_e64 v4, v2, v6, s[2:3]
	v_mul_f64 v[6:7], v[4:5], v[4:5]
	s_waitcnt vmcnt(1)
	v_fmac_f64_e32 v[8:9], s[4:5], v[6:7]
	v_fmac_f64_e32 v[10:11], v[6:7], v[8:9]
	scratch_load_dwordx2 v[8:9], off, off offset:80 ; 8-byte Folded Reload
	s_mov_b32 s4, 0x336a0500
	s_mov_b32 s5, 0x3fedd9ad
	s_waitcnt vmcnt(0)
	v_fmac_f64_e32 v[8:9], v[6:7], v[10:11]
	scratch_load_dwordx2 v[10:11], off, off offset:88 ; 8-byte Folded Reload
	s_waitcnt vmcnt(0)
	v_fmac_f64_e32 v[10:11], v[6:7], v[8:9]
	scratch_load_dwordx2 v[8:9], off, off offset:96 ; 8-byte Folded Reload
	;; [unrolled: 3-line block ×13, first 2 shown]
	s_waitcnt vmcnt(0)
	v_fmac_f64_e32 v[10:11], v[6:7], v[8:9]
	v_fmac_f64_e32 v[12:13], v[6:7], v[10:11]
	v_mov_b64_e32 v[8:9], v[78:79]
	v_fmac_f64_e32 v[8:9], v[6:7], v[12:13]
	v_mov_b64_e32 v[10:11], v[80:81]
	v_fmac_f64_e32 v[10:11], v[6:7], v[8:9]
	v_mul_f64 v[6:7], v[6:7], v[10:11]
	v_fmac_f64_e32 v[4:5], v[4:5], v[6:7]
	scratch_load_dwordx2 v[6:7], off, off offset:200 ; 8-byte Folded Reload
                                        ; implicit-def: $vgpr10_vgpr11
                                        ; implicit-def: $vgpr12_vgpr13
	s_waitcnt vmcnt(0)
	v_fma_f64 v[6:7], s[4:5], v[6:7], -v[4:5]
	v_cndmask_b32_e64 v2, v4, v6, s[2:3]
	v_cndmask_b32_e64 v4, v5, v7, s[2:3]
	s_brev_b32 s2, -2
	v_bfi_b32 v3, s2, v4, v3
	v_fmac_f64_e32 v[2:3], v[20:21], v[0:1]
	v_add_f64 v[0:1], v[2:3], v[2:3]
	v_cmp_nlt_f64_e64 s[4:5], |v[0:1]|, s[46:47]
	v_trig_preop_f64 v[6:7], |v[0:1]|, 0
	v_trig_preop_f64 v[4:5], |v[0:1]|, 1
	v_ldexp_f64 v[8:9], |v[0:1]|, s19
	v_trig_preop_f64 v[2:3], |v[0:1]|, 2
	v_and_b32_e32 v14, 0x7fffffff, v1
	s_and_saveexec_b64 s[2:3], s[4:5]
	s_xor_b64 s[16:17], exec, s[2:3]
	s_cbranch_execz .LBB0_45
; %bb.44:                               ;   in Loop: Header=BB0_34 Depth=1
	v_cmp_ge_f64_e64 vcc, |v[0:1]|, s[48:49]
	s_nop 1
	v_cndmask_b32_e32 v11, v14, v9, vcc
	v_cndmask_b32_e32 v10, v0, v8, vcc
	v_mul_f64 v[16:17], v[6:7], v[10:11]
	v_mul_f64 v[12:13], v[4:5], v[10:11]
	v_fma_f64 v[42:43], v[6:7], v[10:11], -v[16:17]
	v_add_f64 v[44:45], v[12:13], v[42:43]
	v_add_f64 v[58:59], v[44:45], -v[12:13]
	v_add_f64 v[42:43], v[42:43], -v[58:59]
	;; [unrolled: 1-line block ×4, first 2 shown]
	v_add_f64 v[42:43], v[42:43], v[58:59]
	v_fma_f64 v[12:13], v[4:5], v[10:11], -v[12:13]
	v_mul_f64 v[58:59], v[2:3], v[10:11]
	v_add_f64 v[60:61], v[58:59], v[12:13]
	v_add_f64 v[46:47], v[16:17], v[44:45]
	;; [unrolled: 1-line block ×3, first 2 shown]
	v_ldexp_f64 v[48:49], v[46:47], -2
	v_add_f64 v[16:17], v[46:47], -v[16:17]
	v_add_f64 v[46:47], v[62:63], -v[60:61]
	;; [unrolled: 1-line block ×5, first 2 shown]
	v_add_f64 v[42:43], v[42:43], v[46:47]
	v_add_f64 v[46:47], v[60:61], -v[58:59]
	v_add_f64 v[12:13], v[12:13], -v[46:47]
	;; [unrolled: 1-line block ×5, first 2 shown]
	v_add_f64 v[12:13], v[12:13], v[46:47]
	v_fract_f64_e32 v[50:51], v[48:49]
	v_add_f64 v[44:45], v[16:17], v[62:63]
	v_add_f64 v[12:13], v[12:13], v[42:43]
	v_fma_f64 v[10:11], v[2:3], v[10:11], -v[58:59]
	v_add_f64 v[16:17], v[44:45], -v[16:17]
	v_add_f64 v[10:11], v[10:11], v[12:13]
	v_ldexp_f64 v[12:13], v[50:51], 2
	v_cmp_neq_f64_e64 vcc, |v[48:49]|, s[50:51]
	v_add_f64 v[16:17], v[62:63], -v[16:17]
	v_add_f64 v[10:11], v[16:17], v[10:11]
	v_cndmask_b32_e32 v13, 0, v13, vcc
	v_cndmask_b32_e32 v12, 0, v12, vcc
	v_add_f64 v[16:17], v[44:45], v[12:13]
	v_cmp_gt_f64_e32 vcc, 0, v[16:17]
	s_nop 1
	v_cndmask_b32_e32 v91, 0, v55, vcc
	v_add_f64 v[12:13], v[12:13], v[90:91]
	v_add_f64 v[16:17], v[44:45], v[12:13]
	v_cvt_i32_f64_e32 v15, v[16:17]
	v_cvt_f64_i32_e32 v[16:17], v15
	v_add_f64 v[12:13], v[12:13], -v[16:17]
	v_add_f64 v[16:17], v[44:45], v[12:13]
	v_add_f64 v[12:13], v[16:17], -v[12:13]
	v_cmp_le_f64_e32 vcc, 0.5, v[16:17]
	v_add_f64 v[12:13], v[44:45], -v[12:13]
	v_add_f64 v[10:11], v[10:11], v[12:13]
	v_cndmask_b32_e32 v91, 0, v56, vcc
	v_add_f64 v[12:13], v[16:17], -v[90:91]
	v_add_f64 v[16:17], v[12:13], v[10:11]
	v_add_f64 v[12:13], v[16:17], -v[12:13]
	v_add_f64 v[10:11], v[10:11], -v[12:13]
	v_mul_f64 v[12:13], v[16:17], s[52:53]
	v_fma_f64 v[42:43], v[16:17], s[52:53], -v[12:13]
	v_fmac_f64_e32 v[42:43], s[54:55], v[16:17]
	v_fmac_f64_e32 v[42:43], s[52:53], v[10:11]
	v_add_f64 v[10:11], v[12:13], v[42:43]
	v_add_f64 v[12:13], v[10:11], -v[12:13]
	v_addc_co_u32_e64 v15, s[2:3], 0, v15, vcc
	v_add_f64 v[12:13], v[42:43], -v[12:13]
.LBB0_45:                               ;   in Loop: Header=BB0_34 Depth=1
	s_andn2_saveexec_b64 s[2:3], s[16:17]
	s_cbranch_execz .LBB0_47
; %bb.46:                               ;   in Loop: Header=BB0_34 Depth=1
	v_mul_f64 v[10:11], |v[0:1]|, s[56:57]
	v_rndne_f64_e32 v[16:17], v[10:11]
	s_mov_b32 s58, s52
	v_fma_f64 v[10:11], v[16:17], s[58:59], |v[0:1]|
	v_mul_f64 v[42:43], v[16:17], s[60:61]
	v_add_f64 v[46:47], v[10:11], v[42:43]
	v_fma_f64 v[12:13], s[60:61], v[16:17], v[10:11]
	s_mov_b32 s16, s60
	s_mov_b32 s17, s55
	v_add_f64 v[10:11], v[10:11], -v[46:47]
	v_fma_f64 v[44:45], s[16:17], v[16:17], v[42:43]
	v_add_f64 v[10:11], v[10:11], v[42:43]
	v_add_f64 v[42:43], v[46:47], -v[12:13]
	v_add_f64 v[10:11], v[42:43], v[10:11]
	v_add_f64 v[42:43], v[10:11], -v[44:45]
	v_fmac_f64_e32 v[42:43], s[62:63], v[16:17]
	v_add_f64 v[10:11], v[12:13], v[42:43]
	v_add_f64 v[12:13], v[10:11], -v[12:13]
	v_add_f64 v[12:13], v[42:43], -v[12:13]
	v_cvt_i32_f64_e32 v15, v[16:17]
.LBB0_47:                               ;   in Loop: Header=BB0_34 Depth=1
	s_or_b64 exec, exec, s[2:3]
	v_mul_f64 v[16:17], v[10:11], v[10:11]
	v_mov_b64_e32 v[48:49], v[24:25]
	v_mul_f64 v[42:43], v[16:17], 0.5
	v_fmac_f64_e32 v[48:49], s[66:67], v[16:17]
	v_mov_b64_e32 v[50:51], v[26:27]
	v_add_f64 v[44:45], -v[42:43], 1.0
	v_fmac_f64_e32 v[50:51], v[16:17], v[48:49]
	v_mov_b64_e32 v[48:49], v[28:29]
	v_add_f64 v[46:47], -v[44:45], 1.0
	v_fmac_f64_e32 v[48:49], v[16:17], v[50:51]
	v_mov_b64_e32 v[50:51], v[30:31]
	v_add_f64 v[42:43], v[46:47], -v[42:43]
	v_fmac_f64_e32 v[50:51], v[16:17], v[48:49]
	v_mov_b64_e32 v[48:49], v[32:33]
	v_mul_f64 v[46:47], v[16:17], v[16:17]
	v_fmac_f64_e32 v[48:49], v[16:17], v[50:51]
	v_fma_f64 v[42:43], v[10:11], -v[12:13], v[42:43]
	v_fmac_f64_e32 v[42:43], v[46:47], v[48:49]
	v_add_f64 v[42:43], v[44:45], v[42:43]
	v_mov_b64_e32 v[44:45], v[34:35]
	v_fmac_f64_e32 v[44:45], s[80:81], v[16:17]
	v_mov_b64_e32 v[46:47], v[36:37]
	v_fmac_f64_e32 v[46:47], v[16:17], v[44:45]
	;; [unrolled: 2-line block ×4, first 2 shown]
	v_mul_f64 v[44:45], v[10:11], -v[16:17]
	v_mul_f64 v[48:49], v[12:13], 0.5
	v_fmac_f64_e32 v[48:49], v[44:45], v[46:47]
	v_fma_f64 v[12:13], v[16:17], v[48:49], -v[12:13]
	v_fmac_f64_e32 v[12:13], s[76:77], v[44:45]
	v_add_f64 v[10:11], v[10:11], -v[12:13]
	v_and_b32_e32 v12, 1, v15
	v_xor_b32_e32 v11, 0x80000000, v11
	v_cmp_eq_u32_e32 vcc, 0, v12
	v_lshlrev_b32_e32 v12, 30, v15
                                        ; implicit-def: $vgpr15
	s_nop 0
	v_cndmask_b32_e32 v11, v11, v43, vcc
	v_cndmask_b32_e32 v10, v10, v42, vcc
	v_bitop3_b32 v11, v11, v12, s33 bitop3:0x78
	v_cmp_class_f64_e64 vcc, v[0:1], s96
                                        ; implicit-def: $vgpr12_vgpr13
	s_nop 1
	v_cndmask_b32_e32 v10, 0, v10, vcc
	v_cndmask_b32_e32 v11, v57, v11, vcc
	ds_write_b64 v126, v[10:11] offset:16
                                        ; implicit-def: $vgpr10_vgpr11
	s_and_saveexec_b64 s[2:3], s[4:5]
	s_xor_b64 s[16:17], exec, s[2:3]
	s_cbranch_execz .LBB0_49
; %bb.48:                               ;   in Loop: Header=BB0_34 Depth=1
	v_cmp_ge_f64_e64 s[2:3], |v[0:1]|, s[48:49]
	s_nop 1
	v_cndmask_b32_e64 v9, v14, v9, s[2:3]
	v_cndmask_b32_e64 v8, v0, v8, s[2:3]
	v_mul_f64 v[12:13], v[6:7], v[8:9]
	v_mul_f64 v[10:11], v[4:5], v[8:9]
	v_fma_f64 v[6:7], v[6:7], v[8:9], -v[12:13]
	v_add_f64 v[14:15], v[10:11], v[6:7]
	v_add_f64 v[46:47], v[14:15], -v[10:11]
	v_add_f64 v[6:7], v[6:7], -v[46:47]
	;; [unrolled: 1-line block ×4, first 2 shown]
	v_fma_f64 v[4:5], v[4:5], v[8:9], -v[10:11]
	v_mul_f64 v[10:11], v[2:3], v[8:9]
	v_add_f64 v[6:7], v[6:7], v[46:47]
	v_add_f64 v[46:47], v[10:11], v[4:5]
	;; [unrolled: 1-line block ×4, first 2 shown]
	v_ldexp_f64 v[42:43], v[16:17], -2
	v_add_f64 v[12:13], v[16:17], -v[12:13]
	v_add_f64 v[16:17], v[48:49], -v[46:47]
	;; [unrolled: 1-line block ×5, first 2 shown]
	v_add_f64 v[6:7], v[6:7], v[16:17]
	v_add_f64 v[16:17], v[46:47], -v[10:11]
	v_add_f64 v[4:5], v[4:5], -v[16:17]
	;; [unrolled: 1-line block ×4, first 2 shown]
	v_add_f64 v[4:5], v[4:5], v[16:17]
	v_fract_f64_e32 v[44:45], v[42:43]
	v_add_f64 v[4:5], v[4:5], v[6:7]
	v_fma_f64 v[2:3], v[2:3], v[8:9], -v[10:11]
	v_add_f64 v[12:13], v[14:15], -v[12:13]
	v_add_f64 v[2:3], v[2:3], v[4:5]
	v_ldexp_f64 v[4:5], v[44:45], 2
	v_cmp_neq_f64_e64 s[2:3], |v[42:43]|, s[50:51]
	v_add_f64 v[14:15], v[12:13], v[48:49]
	v_add_f64 v[12:13], v[14:15], -v[12:13]
	v_cndmask_b32_e64 v5, 0, v5, s[2:3]
	v_cndmask_b32_e64 v4, 0, v4, s[2:3]
	v_add_f64 v[6:7], v[14:15], v[4:5]
	v_cmp_gt_f64_e64 s[2:3], 0, v[6:7]
	v_add_f64 v[12:13], v[48:49], -v[12:13]
	v_add_f64 v[2:3], v[12:13], v[2:3]
	v_cndmask_b32_e64 v91, 0, v55, s[2:3]
	v_add_f64 v[4:5], v[4:5], v[90:91]
	v_add_f64 v[6:7], v[14:15], v[4:5]
	v_cvt_i32_f64_e32 v8, v[6:7]
	v_cvt_f64_i32_e32 v[6:7], v8
	v_add_f64 v[4:5], v[4:5], -v[6:7]
	v_add_f64 v[6:7], v[14:15], v[4:5]
	v_add_f64 v[4:5], v[6:7], -v[4:5]
	v_cmp_le_f64_e64 s[2:3], 0.5, v[6:7]
	v_add_f64 v[4:5], v[14:15], -v[4:5]
	v_add_f64 v[2:3], v[2:3], v[4:5]
	v_cndmask_b32_e64 v91, 0, v56, s[2:3]
	v_add_f64 v[4:5], v[6:7], -v[90:91]
	v_add_f64 v[6:7], v[4:5], v[2:3]
	v_add_f64 v[4:5], v[6:7], -v[4:5]
	v_add_f64 v[2:3], v[2:3], -v[4:5]
	v_mul_f64 v[4:5], v[6:7], s[52:53]
	v_addc_co_u32_e64 v15, s[4:5], 0, v8, s[2:3]
	v_fma_f64 v[8:9], v[6:7], s[52:53], -v[4:5]
	v_fmac_f64_e32 v[8:9], s[54:55], v[6:7]
	v_fmac_f64_e32 v[8:9], s[52:53], v[2:3]
	v_add_f64 v[10:11], v[4:5], v[8:9]
	v_add_f64 v[2:3], v[10:11], -v[4:5]
	v_add_f64 v[12:13], v[8:9], -v[2:3]
.LBB0_49:                               ;   in Loop: Header=BB0_34 Depth=1
	s_andn2_saveexec_b64 s[2:3], s[16:17]
	s_cbranch_execz .LBB0_51
; %bb.50:                               ;   in Loop: Header=BB0_34 Depth=1
	v_mul_f64 v[2:3], |v[0:1]|, s[56:57]
	v_rndne_f64_e32 v[2:3], v[2:3]
	s_mov_b32 s58, s52
	v_fma_f64 v[4:5], v[2:3], s[58:59], |v[0:1]|
	v_mul_f64 v[8:9], v[2:3], s[60:61]
	v_add_f64 v[12:13], v[4:5], v[8:9]
	v_fma_f64 v[6:7], s[60:61], v[2:3], v[4:5]
	s_mov_b32 s4, s60
	s_mov_b32 s5, s55
	v_add_f64 v[4:5], v[4:5], -v[12:13]
	v_fma_f64 v[10:11], s[4:5], v[2:3], v[8:9]
	v_add_f64 v[4:5], v[4:5], v[8:9]
	v_add_f64 v[8:9], v[12:13], -v[6:7]
	v_add_f64 v[4:5], v[8:9], v[4:5]
	v_add_f64 v[4:5], v[4:5], -v[10:11]
	v_fmac_f64_e32 v[4:5], s[62:63], v[2:3]
	v_add_f64 v[10:11], v[6:7], v[4:5]
	v_add_f64 v[6:7], v[10:11], -v[6:7]
	v_add_f64 v[12:13], v[4:5], -v[6:7]
	v_cvt_i32_f64_e32 v15, v[2:3]
.LBB0_51:                               ;   in Loop: Header=BB0_34 Depth=1
	s_or_b64 exec, exec, s[2:3]
	v_mul_f64 v[2:3], v[10:11], v[10:11]
	v_mov_b64_e32 v[16:17], v[24:25]
	v_mul_f64 v[4:5], v[2:3], 0.5
	v_fmac_f64_e32 v[16:17], s[66:67], v[2:3]
	v_mov_b64_e32 v[42:43], v[26:27]
	v_add_f64 v[6:7], -v[4:5], 1.0
	v_fmac_f64_e32 v[42:43], v[2:3], v[16:17]
	v_mov_b64_e32 v[16:17], v[28:29]
	v_add_f64 v[8:9], -v[6:7], 1.0
	v_fmac_f64_e32 v[16:17], v[2:3], v[42:43]
	v_mov_b64_e32 v[42:43], v[30:31]
	v_add_f64 v[4:5], v[8:9], -v[4:5]
	v_fmac_f64_e32 v[42:43], v[2:3], v[16:17]
	v_mov_b64_e32 v[16:17], v[32:33]
	v_mul_f64 v[8:9], v[2:3], v[2:3]
	v_fmac_f64_e32 v[16:17], v[2:3], v[42:43]
	v_fma_f64 v[4:5], v[10:11], -v[12:13], v[4:5]
	v_fmac_f64_e32 v[4:5], v[8:9], v[16:17]
	v_add_f64 v[4:5], v[6:7], v[4:5]
	v_mov_b64_e32 v[6:7], v[34:35]
	v_fmac_f64_e32 v[6:7], s[80:81], v[2:3]
	v_mov_b64_e32 v[8:9], v[36:37]
	v_fmac_f64_e32 v[8:9], v[2:3], v[6:7]
	;; [unrolled: 2-line block ×4, first 2 shown]
	v_mul_f64 v[6:7], v[10:11], -v[2:3]
	v_mul_f64 v[16:17], v[12:13], 0.5
	v_fmac_f64_e32 v[16:17], v[6:7], v[8:9]
	v_fma_f64 v[2:3], v[2:3], v[16:17], -v[12:13]
	v_fmac_f64_e32 v[2:3], s[76:77], v[6:7]
	v_and_b32_e32 v0, 1, v15
	v_add_f64 v[2:3], v[10:11], -v[2:3]
	v_cmp_eq_u32_e64 s[2:3], 0, v0
	s_nop 1
	v_cndmask_b32_e64 v0, v4, v2, s[2:3]
	v_cndmask_b32_e64 v2, v5, v3, s[2:3]
	v_lshlrev_b32_e32 v3, 30, v15
	v_xor_b32_e32 v1, v3, v1
	v_bitop3_b32 v1, v2, v1, s33 bitop3:0x78
	v_cndmask_b32_e32 v0, 0, v0, vcc
	v_cndmask_b32_e64 v1, v67, -v1, vcc
	ds_write_b64 v126, v[0:1] offset:24
	global_load_dwordx2 v[0:1], v[100:101], off offset:16
	s_mov_b32 s2, 0
	s_mov_b32 s3, 0x40080000
                                        ; implicit-def: $vgpr15
	s_waitcnt vmcnt(0)
	v_mul_f64 v[2:3], v[20:21], v[0:1]
	v_mul_f64 v[4:5], v[2:3], s[2:3]
	v_fma_f64 v[2:3], -v[2:3], v[2:3], s[2:3]
	v_div_scale_f64 v[6:7], s[2:3], v[2:3], v[2:3], v[4:5]
	v_rcp_f64_e32 v[8:9], v[6:7]
	s_nop 0
	v_fma_f64 v[10:11], -v[6:7], v[8:9], 1.0
	v_fmac_f64_e32 v[8:9], v[8:9], v[10:11]
	v_fma_f64 v[10:11], -v[6:7], v[8:9], 1.0
	v_fmac_f64_e32 v[8:9], v[8:9], v[10:11]
	v_div_scale_f64 v[10:11], vcc, v[4:5], v[2:3], v[4:5]
	v_mul_f64 v[12:13], v[10:11], v[8:9]
	v_fma_f64 v[6:7], -v[6:7], v[12:13], v[10:11]
	s_nop 1
	v_div_fmas_f64 v[6:7], v[6:7], v[8:9], v[12:13]
	v_div_fixup_f64 v[2:3], v[6:7], v[2:3], v[4:5]
	v_and_b32_e32 v5, 0x7fffffff, v3
	v_mov_b32_e32 v4, v2
	v_div_scale_f64 v[6:7], s[4:5], v[4:5], v[4:5], 1.0
	v_rcp_f64_e32 v[8:9], v[6:7]
	v_cmp_gt_f64_e64 s[2:3], |v[2:3]|, 1.0
	s_mov_b32 s4, 0xb5e68a13
	s_mov_b32 s5, 0x3eeba404
	v_fma_f64 v[10:11], -v[6:7], v[8:9], 1.0
	v_fmac_f64_e32 v[8:9], v[8:9], v[10:11]
	v_fma_f64 v[10:11], -v[6:7], v[8:9], 1.0
	v_fmac_f64_e32 v[8:9], v[8:9], v[10:11]
	v_div_scale_f64 v[10:11], vcc, 1.0, v[4:5], 1.0
	v_mul_f64 v[12:13], v[10:11], v[8:9]
	v_fma_f64 v[6:7], -v[6:7], v[12:13], v[10:11]
	scratch_load_dwordx2 v[10:11], off, off offset:72 ; 8-byte Folded Reload
	s_nop 0
	v_div_fmas_f64 v[6:7], v[6:7], v[8:9], v[12:13]
	scratch_load_dwordx2 v[8:9], off, off offset:64 ; 8-byte Folded Reload
	scratch_load_dwordx2 v[12:13], off, off offset:192 ; 8-byte Folded Reload
	v_div_fixup_f64 v[6:7], v[6:7], |v[2:3]|, 1.0
	v_cndmask_b32_e64 v5, v5, v7, s[2:3]
	v_cndmask_b32_e64 v4, v2, v6, s[2:3]
	v_mul_f64 v[6:7], v[4:5], v[4:5]
	s_waitcnt vmcnt(1)
	v_fmac_f64_e32 v[8:9], s[4:5], v[6:7]
	v_fmac_f64_e32 v[10:11], v[6:7], v[8:9]
	scratch_load_dwordx2 v[8:9], off, off offset:80 ; 8-byte Folded Reload
	s_mov_b32 s4, 0x336a0500
	s_mov_b32 s5, 0x3fedd9ad
	s_waitcnt vmcnt(0)
	v_fmac_f64_e32 v[8:9], v[6:7], v[10:11]
	scratch_load_dwordx2 v[10:11], off, off offset:88 ; 8-byte Folded Reload
	s_waitcnt vmcnt(0)
	v_fmac_f64_e32 v[10:11], v[6:7], v[8:9]
	scratch_load_dwordx2 v[8:9], off, off offset:96 ; 8-byte Folded Reload
	;; [unrolled: 3-line block ×13, first 2 shown]
	s_waitcnt vmcnt(0)
	v_fmac_f64_e32 v[10:11], v[6:7], v[8:9]
	v_fmac_f64_e32 v[12:13], v[6:7], v[10:11]
	v_mov_b64_e32 v[8:9], v[78:79]
	v_fmac_f64_e32 v[8:9], v[6:7], v[12:13]
	v_mov_b64_e32 v[10:11], v[80:81]
	v_fmac_f64_e32 v[10:11], v[6:7], v[8:9]
	v_mul_f64 v[6:7], v[6:7], v[10:11]
	v_fmac_f64_e32 v[4:5], v[4:5], v[6:7]
	scratch_load_dwordx2 v[6:7], off, off offset:200 ; 8-byte Folded Reload
                                        ; implicit-def: $vgpr10_vgpr11
                                        ; implicit-def: $vgpr12_vgpr13
	s_waitcnt vmcnt(0)
	v_fma_f64 v[6:7], s[4:5], v[6:7], -v[4:5]
	v_cndmask_b32_e64 v2, v4, v6, s[2:3]
	v_cndmask_b32_e64 v4, v5, v7, s[2:3]
	s_brev_b32 s2, -2
	v_bfi_b32 v3, s2, v4, v3
	v_fma_f64 v[0:1], v[20:21], v[0:1], -v[2:3]
	v_add_f64 v[0:1], v[0:1], v[0:1]
	v_cmp_nlt_f64_e64 s[4:5], |v[0:1]|, s[46:47]
	v_trig_preop_f64 v[6:7], |v[0:1]|, 0
	v_trig_preop_f64 v[4:5], |v[0:1]|, 1
	v_ldexp_f64 v[8:9], |v[0:1]|, s19
	v_trig_preop_f64 v[2:3], |v[0:1]|, 2
	v_and_b32_e32 v14, 0x7fffffff, v1
	s_and_saveexec_b64 s[2:3], s[4:5]
	s_xor_b64 s[16:17], exec, s[2:3]
	s_cbranch_execz .LBB0_53
; %bb.52:                               ;   in Loop: Header=BB0_34 Depth=1
	v_cmp_ge_f64_e64 vcc, |v[0:1]|, s[48:49]
	s_nop 1
	v_cndmask_b32_e32 v11, v14, v9, vcc
	v_cndmask_b32_e32 v10, v0, v8, vcc
	v_mul_f64 v[16:17], v[6:7], v[10:11]
	v_mul_f64 v[12:13], v[4:5], v[10:11]
	v_fma_f64 v[42:43], v[6:7], v[10:11], -v[16:17]
	v_add_f64 v[44:45], v[12:13], v[42:43]
	v_add_f64 v[58:59], v[44:45], -v[12:13]
	v_add_f64 v[42:43], v[42:43], -v[58:59]
	;; [unrolled: 1-line block ×4, first 2 shown]
	v_add_f64 v[42:43], v[42:43], v[58:59]
	v_fma_f64 v[12:13], v[4:5], v[10:11], -v[12:13]
	v_mul_f64 v[58:59], v[2:3], v[10:11]
	v_add_f64 v[60:61], v[58:59], v[12:13]
	v_add_f64 v[46:47], v[16:17], v[44:45]
	;; [unrolled: 1-line block ×3, first 2 shown]
	v_ldexp_f64 v[48:49], v[46:47], -2
	v_add_f64 v[16:17], v[46:47], -v[16:17]
	v_add_f64 v[46:47], v[62:63], -v[60:61]
	v_add_f64 v[42:43], v[42:43], -v[46:47]
	v_add_f64 v[46:47], v[62:63], -v[46:47]
	v_add_f64 v[46:47], v[60:61], -v[46:47]
	v_add_f64 v[42:43], v[42:43], v[46:47]
	v_add_f64 v[46:47], v[60:61], -v[58:59]
	v_add_f64 v[12:13], v[12:13], -v[46:47]
	;; [unrolled: 1-line block ×5, first 2 shown]
	v_add_f64 v[12:13], v[12:13], v[46:47]
	v_fract_f64_e32 v[50:51], v[48:49]
	v_add_f64 v[44:45], v[16:17], v[62:63]
	v_add_f64 v[12:13], v[12:13], v[42:43]
	v_fma_f64 v[10:11], v[2:3], v[10:11], -v[58:59]
	v_add_f64 v[16:17], v[44:45], -v[16:17]
	v_add_f64 v[10:11], v[10:11], v[12:13]
	v_ldexp_f64 v[12:13], v[50:51], 2
	v_cmp_neq_f64_e64 vcc, |v[48:49]|, s[50:51]
	v_add_f64 v[16:17], v[62:63], -v[16:17]
	v_add_f64 v[10:11], v[16:17], v[10:11]
	v_cndmask_b32_e32 v13, 0, v13, vcc
	v_cndmask_b32_e32 v12, 0, v12, vcc
	v_add_f64 v[16:17], v[44:45], v[12:13]
	v_cmp_gt_f64_e32 vcc, 0, v[16:17]
	s_nop 1
	v_cndmask_b32_e32 v91, 0, v55, vcc
	v_add_f64 v[12:13], v[12:13], v[90:91]
	v_add_f64 v[16:17], v[44:45], v[12:13]
	v_cvt_i32_f64_e32 v15, v[16:17]
	v_cvt_f64_i32_e32 v[16:17], v15
	v_add_f64 v[12:13], v[12:13], -v[16:17]
	v_add_f64 v[16:17], v[44:45], v[12:13]
	v_add_f64 v[12:13], v[16:17], -v[12:13]
	v_cmp_le_f64_e32 vcc, 0.5, v[16:17]
	v_add_f64 v[12:13], v[44:45], -v[12:13]
	v_add_f64 v[10:11], v[10:11], v[12:13]
	v_cndmask_b32_e32 v91, 0, v56, vcc
	v_add_f64 v[12:13], v[16:17], -v[90:91]
	v_add_f64 v[16:17], v[12:13], v[10:11]
	v_add_f64 v[12:13], v[16:17], -v[12:13]
	v_add_f64 v[10:11], v[10:11], -v[12:13]
	v_mul_f64 v[12:13], v[16:17], s[52:53]
	v_fma_f64 v[42:43], v[16:17], s[52:53], -v[12:13]
	v_fmac_f64_e32 v[42:43], s[54:55], v[16:17]
	v_fmac_f64_e32 v[42:43], s[52:53], v[10:11]
	v_add_f64 v[10:11], v[12:13], v[42:43]
	v_add_f64 v[12:13], v[10:11], -v[12:13]
	v_addc_co_u32_e64 v15, s[2:3], 0, v15, vcc
	v_add_f64 v[12:13], v[42:43], -v[12:13]
.LBB0_53:                               ;   in Loop: Header=BB0_34 Depth=1
	s_andn2_saveexec_b64 s[2:3], s[16:17]
	s_cbranch_execz .LBB0_55
; %bb.54:                               ;   in Loop: Header=BB0_34 Depth=1
	v_mul_f64 v[10:11], |v[0:1]|, s[56:57]
	v_rndne_f64_e32 v[16:17], v[10:11]
	s_mov_b32 s58, s52
	v_fma_f64 v[10:11], v[16:17], s[58:59], |v[0:1]|
	v_mul_f64 v[42:43], v[16:17], s[60:61]
	v_add_f64 v[46:47], v[10:11], v[42:43]
	v_fma_f64 v[12:13], s[60:61], v[16:17], v[10:11]
	s_mov_b32 s16, s60
	s_mov_b32 s17, s55
	v_add_f64 v[10:11], v[10:11], -v[46:47]
	v_fma_f64 v[44:45], s[16:17], v[16:17], v[42:43]
	v_add_f64 v[10:11], v[10:11], v[42:43]
	v_add_f64 v[42:43], v[46:47], -v[12:13]
	v_add_f64 v[10:11], v[42:43], v[10:11]
	v_add_f64 v[42:43], v[10:11], -v[44:45]
	v_fmac_f64_e32 v[42:43], s[62:63], v[16:17]
	v_add_f64 v[10:11], v[12:13], v[42:43]
	v_add_f64 v[12:13], v[10:11], -v[12:13]
	v_add_f64 v[12:13], v[42:43], -v[12:13]
	v_cvt_i32_f64_e32 v15, v[16:17]
.LBB0_55:                               ;   in Loop: Header=BB0_34 Depth=1
	s_or_b64 exec, exec, s[2:3]
	v_mul_f64 v[16:17], v[10:11], v[10:11]
	v_mov_b64_e32 v[48:49], v[24:25]
	v_mul_f64 v[42:43], v[16:17], 0.5
	v_fmac_f64_e32 v[48:49], s[66:67], v[16:17]
	v_mov_b64_e32 v[50:51], v[26:27]
	v_add_f64 v[44:45], -v[42:43], 1.0
	v_fmac_f64_e32 v[50:51], v[16:17], v[48:49]
	v_mov_b64_e32 v[48:49], v[28:29]
	v_add_f64 v[46:47], -v[44:45], 1.0
	v_fmac_f64_e32 v[48:49], v[16:17], v[50:51]
	v_mov_b64_e32 v[50:51], v[30:31]
	v_add_f64 v[42:43], v[46:47], -v[42:43]
	v_fmac_f64_e32 v[50:51], v[16:17], v[48:49]
	v_mov_b64_e32 v[48:49], v[32:33]
	v_mul_f64 v[46:47], v[16:17], v[16:17]
	v_fmac_f64_e32 v[48:49], v[16:17], v[50:51]
	v_fma_f64 v[42:43], v[10:11], -v[12:13], v[42:43]
	v_fmac_f64_e32 v[42:43], v[46:47], v[48:49]
	v_add_f64 v[42:43], v[44:45], v[42:43]
	v_mov_b64_e32 v[44:45], v[34:35]
	v_fmac_f64_e32 v[44:45], s[80:81], v[16:17]
	v_mov_b64_e32 v[46:47], v[36:37]
	v_fmac_f64_e32 v[46:47], v[16:17], v[44:45]
	;; [unrolled: 2-line block ×4, first 2 shown]
	v_mul_f64 v[44:45], v[10:11], -v[16:17]
	v_mul_f64 v[48:49], v[12:13], 0.5
	v_fmac_f64_e32 v[48:49], v[44:45], v[46:47]
	v_fma_f64 v[12:13], v[16:17], v[48:49], -v[12:13]
	v_fmac_f64_e32 v[12:13], s[76:77], v[44:45]
	v_add_f64 v[10:11], v[10:11], -v[12:13]
	v_and_b32_e32 v12, 1, v15
	v_xor_b32_e32 v11, 0x80000000, v11
	v_cmp_eq_u32_e32 vcc, 0, v12
	v_lshlrev_b32_e32 v12, 30, v15
                                        ; implicit-def: $vgpr15
	s_nop 0
	v_cndmask_b32_e32 v11, v11, v43, vcc
	v_cndmask_b32_e32 v10, v10, v42, vcc
	v_bitop3_b32 v11, v11, v12, s33 bitop3:0x78
	v_cmp_class_f64_e64 vcc, v[0:1], s96
                                        ; implicit-def: $vgpr12_vgpr13
	s_nop 1
	v_cndmask_b32_e32 v10, 0, v10, vcc
	v_cndmask_b32_e32 v11, v57, v11, vcc
	ds_write_b64 v126, v[10:11] offset:32
                                        ; implicit-def: $vgpr10_vgpr11
	s_and_saveexec_b64 s[2:3], s[4:5]
	s_xor_b64 s[16:17], exec, s[2:3]
	s_cbranch_execz .LBB0_57
; %bb.56:                               ;   in Loop: Header=BB0_34 Depth=1
	v_cmp_ge_f64_e64 s[2:3], |v[0:1]|, s[48:49]
	s_nop 1
	v_cndmask_b32_e64 v9, v14, v9, s[2:3]
	v_cndmask_b32_e64 v8, v0, v8, s[2:3]
	v_mul_f64 v[12:13], v[6:7], v[8:9]
	v_mul_f64 v[10:11], v[4:5], v[8:9]
	v_fma_f64 v[6:7], v[6:7], v[8:9], -v[12:13]
	v_add_f64 v[14:15], v[10:11], v[6:7]
	v_add_f64 v[46:47], v[14:15], -v[10:11]
	v_add_f64 v[6:7], v[6:7], -v[46:47]
	;; [unrolled: 1-line block ×4, first 2 shown]
	v_fma_f64 v[4:5], v[4:5], v[8:9], -v[10:11]
	v_mul_f64 v[10:11], v[2:3], v[8:9]
	v_add_f64 v[6:7], v[6:7], v[46:47]
	v_add_f64 v[46:47], v[10:11], v[4:5]
	;; [unrolled: 1-line block ×4, first 2 shown]
	v_ldexp_f64 v[42:43], v[16:17], -2
	v_add_f64 v[12:13], v[16:17], -v[12:13]
	v_add_f64 v[16:17], v[48:49], -v[46:47]
	;; [unrolled: 1-line block ×5, first 2 shown]
	v_add_f64 v[6:7], v[6:7], v[16:17]
	v_add_f64 v[16:17], v[46:47], -v[10:11]
	v_add_f64 v[4:5], v[4:5], -v[16:17]
	v_add_f64 v[16:17], v[46:47], -v[16:17]
	v_add_f64 v[16:17], v[10:11], -v[16:17]
	v_add_f64 v[4:5], v[4:5], v[16:17]
	v_fract_f64_e32 v[44:45], v[42:43]
	v_add_f64 v[4:5], v[4:5], v[6:7]
	v_fma_f64 v[2:3], v[2:3], v[8:9], -v[10:11]
	v_add_f64 v[12:13], v[14:15], -v[12:13]
	v_add_f64 v[2:3], v[2:3], v[4:5]
	v_ldexp_f64 v[4:5], v[44:45], 2
	v_cmp_neq_f64_e64 s[2:3], |v[42:43]|, s[50:51]
	v_add_f64 v[14:15], v[12:13], v[48:49]
	v_add_f64 v[12:13], v[14:15], -v[12:13]
	v_cndmask_b32_e64 v5, 0, v5, s[2:3]
	v_cndmask_b32_e64 v4, 0, v4, s[2:3]
	v_add_f64 v[6:7], v[14:15], v[4:5]
	v_cmp_gt_f64_e64 s[2:3], 0, v[6:7]
	v_add_f64 v[12:13], v[48:49], -v[12:13]
	v_add_f64 v[2:3], v[12:13], v[2:3]
	v_cndmask_b32_e64 v91, 0, v55, s[2:3]
	v_add_f64 v[4:5], v[4:5], v[90:91]
	v_add_f64 v[6:7], v[14:15], v[4:5]
	v_cvt_i32_f64_e32 v8, v[6:7]
	v_cvt_f64_i32_e32 v[6:7], v8
	v_add_f64 v[4:5], v[4:5], -v[6:7]
	v_add_f64 v[6:7], v[14:15], v[4:5]
	v_add_f64 v[4:5], v[6:7], -v[4:5]
	v_cmp_le_f64_e64 s[2:3], 0.5, v[6:7]
	v_add_f64 v[4:5], v[14:15], -v[4:5]
	v_add_f64 v[2:3], v[2:3], v[4:5]
	v_cndmask_b32_e64 v91, 0, v56, s[2:3]
	v_add_f64 v[4:5], v[6:7], -v[90:91]
	v_add_f64 v[6:7], v[4:5], v[2:3]
	v_add_f64 v[4:5], v[6:7], -v[4:5]
	v_add_f64 v[2:3], v[2:3], -v[4:5]
	v_mul_f64 v[4:5], v[6:7], s[52:53]
	v_addc_co_u32_e64 v15, s[4:5], 0, v8, s[2:3]
	v_fma_f64 v[8:9], v[6:7], s[52:53], -v[4:5]
	v_fmac_f64_e32 v[8:9], s[54:55], v[6:7]
	v_fmac_f64_e32 v[8:9], s[52:53], v[2:3]
	v_add_f64 v[10:11], v[4:5], v[8:9]
	v_add_f64 v[2:3], v[10:11], -v[4:5]
	v_add_f64 v[12:13], v[8:9], -v[2:3]
.LBB0_57:                               ;   in Loop: Header=BB0_34 Depth=1
	s_andn2_saveexec_b64 s[2:3], s[16:17]
	s_cbranch_execz .LBB0_59
; %bb.58:                               ;   in Loop: Header=BB0_34 Depth=1
	v_mul_f64 v[2:3], |v[0:1]|, s[56:57]
	v_rndne_f64_e32 v[2:3], v[2:3]
	s_mov_b32 s58, s52
	v_fma_f64 v[4:5], v[2:3], s[58:59], |v[0:1]|
	v_mul_f64 v[8:9], v[2:3], s[60:61]
	v_add_f64 v[12:13], v[4:5], v[8:9]
	v_fma_f64 v[6:7], s[60:61], v[2:3], v[4:5]
	s_mov_b32 s4, s60
	s_mov_b32 s5, s55
	v_add_f64 v[4:5], v[4:5], -v[12:13]
	v_fma_f64 v[10:11], s[4:5], v[2:3], v[8:9]
	v_add_f64 v[4:5], v[4:5], v[8:9]
	v_add_f64 v[8:9], v[12:13], -v[6:7]
	v_add_f64 v[4:5], v[8:9], v[4:5]
	v_add_f64 v[4:5], v[4:5], -v[10:11]
	v_fmac_f64_e32 v[4:5], s[62:63], v[2:3]
	v_add_f64 v[10:11], v[6:7], v[4:5]
	v_add_f64 v[6:7], v[10:11], -v[6:7]
	v_add_f64 v[12:13], v[4:5], -v[6:7]
	v_cvt_i32_f64_e32 v15, v[2:3]
.LBB0_59:                               ;   in Loop: Header=BB0_34 Depth=1
	s_or_b64 exec, exec, s[2:3]
	v_mul_f64 v[2:3], v[10:11], v[10:11]
	v_mov_b64_e32 v[16:17], v[24:25]
	v_mul_f64 v[4:5], v[2:3], 0.5
	v_fmac_f64_e32 v[16:17], s[66:67], v[2:3]
	v_mov_b64_e32 v[42:43], v[26:27]
	v_add_f64 v[6:7], -v[4:5], 1.0
	v_fmac_f64_e32 v[42:43], v[2:3], v[16:17]
	v_mov_b64_e32 v[16:17], v[28:29]
	v_add_f64 v[8:9], -v[6:7], 1.0
	v_fmac_f64_e32 v[16:17], v[2:3], v[42:43]
	v_mov_b64_e32 v[42:43], v[30:31]
	v_add_f64 v[4:5], v[8:9], -v[4:5]
	v_fmac_f64_e32 v[42:43], v[2:3], v[16:17]
	v_mov_b64_e32 v[16:17], v[32:33]
	v_mul_f64 v[8:9], v[2:3], v[2:3]
	v_fmac_f64_e32 v[16:17], v[2:3], v[42:43]
	v_fma_f64 v[4:5], v[10:11], -v[12:13], v[4:5]
	v_fmac_f64_e32 v[4:5], v[8:9], v[16:17]
	v_add_f64 v[4:5], v[6:7], v[4:5]
	v_mov_b64_e32 v[6:7], v[34:35]
	v_fmac_f64_e32 v[6:7], s[80:81], v[2:3]
	v_mov_b64_e32 v[8:9], v[36:37]
	v_fmac_f64_e32 v[8:9], v[2:3], v[6:7]
	;; [unrolled: 2-line block ×4, first 2 shown]
	v_mul_f64 v[6:7], v[10:11], -v[2:3]
	v_mul_f64 v[16:17], v[12:13], 0.5
	v_fmac_f64_e32 v[16:17], v[6:7], v[8:9]
	v_fma_f64 v[2:3], v[2:3], v[16:17], -v[12:13]
	v_fmac_f64_e32 v[2:3], s[76:77], v[6:7]
	v_and_b32_e32 v0, 1, v15
	v_add_f64 v[2:3], v[10:11], -v[2:3]
	v_cmp_eq_u32_e64 s[2:3], 0, v0
	v_mov_b32_e32 v8, 0
	v_mov_b32_e32 v9, 0x402e0000
	v_cndmask_b32_e64 v0, v4, v2, s[2:3]
	v_cndmask_b32_e64 v2, v5, v3, s[2:3]
	v_lshlrev_b32_e32 v3, 30, v15
	v_xor_b32_e32 v1, v3, v1
	v_bitop3_b32 v1, v2, v1, s33 bitop3:0x78
	v_cndmask_b32_e32 v0, 0, v0, vcc
	v_cndmask_b32_e64 v1, v67, -v1, vcc
	ds_write_b64 v126, v[0:1] offset:40
	global_load_dwordx2 v[0:1], v[100:101], off offset:24
	s_mov_b32 s2, 0
	s_mov_b32 s3, 0xc0180000
                                        ; implicit-def: $vgpr15
	s_waitcnt vmcnt(0)
	v_mul_f64 v[2:3], v[20:21], v[0:1]
	v_fma_f64 v[4:5], -v[2:3], v[2:3], v[8:9]
	v_mul_f64 v[6:7], v[2:3], s[2:3]
	v_mul_f64 v[4:5], v[2:3], v[4:5]
	v_fma_f64 v[2:3], v[2:3], v[6:7], v[8:9]
	v_div_scale_f64 v[6:7], s[2:3], v[2:3], v[2:3], v[4:5]
	v_rcp_f64_e32 v[8:9], v[6:7]
	s_nop 0
	v_fma_f64 v[10:11], -v[6:7], v[8:9], 1.0
	v_fmac_f64_e32 v[8:9], v[8:9], v[10:11]
	v_fma_f64 v[10:11], -v[6:7], v[8:9], 1.0
	v_fmac_f64_e32 v[8:9], v[8:9], v[10:11]
	v_div_scale_f64 v[10:11], vcc, v[4:5], v[2:3], v[4:5]
	v_mul_f64 v[12:13], v[10:11], v[8:9]
	v_fma_f64 v[6:7], -v[6:7], v[12:13], v[10:11]
	s_nop 1
	v_div_fmas_f64 v[6:7], v[6:7], v[8:9], v[12:13]
	v_div_fixup_f64 v[2:3], v[6:7], v[2:3], v[4:5]
	v_and_b32_e32 v5, 0x7fffffff, v3
	v_mov_b32_e32 v4, v2
	v_div_scale_f64 v[6:7], s[4:5], v[4:5], v[4:5], 1.0
	v_rcp_f64_e32 v[8:9], v[6:7]
	v_cmp_gt_f64_e64 s[2:3], |v[2:3]|, 1.0
	s_mov_b32 s4, 0xb5e68a13
	s_mov_b32 s5, 0x3eeba404
	v_fma_f64 v[10:11], -v[6:7], v[8:9], 1.0
	v_fmac_f64_e32 v[8:9], v[8:9], v[10:11]
	v_fma_f64 v[10:11], -v[6:7], v[8:9], 1.0
	v_fmac_f64_e32 v[8:9], v[8:9], v[10:11]
	v_div_scale_f64 v[10:11], vcc, 1.0, v[4:5], 1.0
	v_mul_f64 v[12:13], v[10:11], v[8:9]
	v_fma_f64 v[6:7], -v[6:7], v[12:13], v[10:11]
	scratch_load_dwordx2 v[10:11], off, off offset:72 ; 8-byte Folded Reload
	s_nop 0
	v_div_fmas_f64 v[6:7], v[6:7], v[8:9], v[12:13]
	scratch_load_dwordx2 v[8:9], off, off offset:64 ; 8-byte Folded Reload
	scratch_load_dwordx2 v[12:13], off, off offset:192 ; 8-byte Folded Reload
	v_div_fixup_f64 v[6:7], v[6:7], |v[2:3]|, 1.0
	v_cndmask_b32_e64 v5, v5, v7, s[2:3]
	v_cndmask_b32_e64 v4, v2, v6, s[2:3]
	v_mul_f64 v[6:7], v[4:5], v[4:5]
	s_waitcnt vmcnt(1)
	v_fmac_f64_e32 v[8:9], s[4:5], v[6:7]
	v_fmac_f64_e32 v[10:11], v[6:7], v[8:9]
	scratch_load_dwordx2 v[8:9], off, off offset:80 ; 8-byte Folded Reload
	s_mov_b32 s4, 0x336a0500
	s_mov_b32 s5, 0x3fedd9ad
	s_waitcnt vmcnt(0)
	v_fmac_f64_e32 v[8:9], v[6:7], v[10:11]
	scratch_load_dwordx2 v[10:11], off, off offset:88 ; 8-byte Folded Reload
	s_waitcnt vmcnt(0)
	v_fmac_f64_e32 v[10:11], v[6:7], v[8:9]
	scratch_load_dwordx2 v[8:9], off, off offset:96 ; 8-byte Folded Reload
	;; [unrolled: 3-line block ×13, first 2 shown]
	s_waitcnt vmcnt(0)
	v_fmac_f64_e32 v[10:11], v[6:7], v[8:9]
	v_fmac_f64_e32 v[12:13], v[6:7], v[10:11]
	v_mov_b64_e32 v[8:9], v[78:79]
	v_fmac_f64_e32 v[8:9], v[6:7], v[12:13]
	v_mov_b64_e32 v[10:11], v[80:81]
	v_fmac_f64_e32 v[10:11], v[6:7], v[8:9]
	v_mul_f64 v[6:7], v[6:7], v[10:11]
	v_fmac_f64_e32 v[4:5], v[4:5], v[6:7]
	scratch_load_dwordx2 v[6:7], off, off offset:200 ; 8-byte Folded Reload
                                        ; implicit-def: $vgpr10_vgpr11
                                        ; implicit-def: $vgpr12_vgpr13
	s_waitcnt vmcnt(0)
	v_fma_f64 v[6:7], s[4:5], v[6:7], -v[4:5]
	v_cndmask_b32_e64 v2, v4, v6, s[2:3]
	v_cndmask_b32_e64 v4, v5, v7, s[2:3]
	s_brev_b32 s2, -2
	v_bfi_b32 v3, s2, v4, v3
	v_fma_f64 v[0:1], v[20:21], v[0:1], -v[2:3]
	v_add_f64 v[0:1], v[0:1], v[0:1]
	v_cmp_nlt_f64_e64 s[4:5], |v[0:1]|, s[46:47]
	v_trig_preop_f64 v[6:7], |v[0:1]|, 0
	v_trig_preop_f64 v[4:5], |v[0:1]|, 1
	v_ldexp_f64 v[8:9], |v[0:1]|, s19
	v_trig_preop_f64 v[2:3], |v[0:1]|, 2
	v_and_b32_e32 v14, 0x7fffffff, v1
	s_and_saveexec_b64 s[2:3], s[4:5]
	s_xor_b64 s[16:17], exec, s[2:3]
	s_cbranch_execz .LBB0_61
; %bb.60:                               ;   in Loop: Header=BB0_34 Depth=1
	v_cmp_ge_f64_e64 vcc, |v[0:1]|, s[48:49]
	s_nop 1
	v_cndmask_b32_e32 v11, v14, v9, vcc
	v_cndmask_b32_e32 v10, v0, v8, vcc
	v_mul_f64 v[16:17], v[6:7], v[10:11]
	v_mul_f64 v[12:13], v[4:5], v[10:11]
	v_fma_f64 v[42:43], v[6:7], v[10:11], -v[16:17]
	v_add_f64 v[44:45], v[12:13], v[42:43]
	v_add_f64 v[58:59], v[44:45], -v[12:13]
	v_add_f64 v[42:43], v[42:43], -v[58:59]
	;; [unrolled: 1-line block ×4, first 2 shown]
	v_add_f64 v[42:43], v[42:43], v[58:59]
	v_fma_f64 v[12:13], v[4:5], v[10:11], -v[12:13]
	v_mul_f64 v[58:59], v[2:3], v[10:11]
	v_add_f64 v[60:61], v[58:59], v[12:13]
	v_add_f64 v[46:47], v[16:17], v[44:45]
	;; [unrolled: 1-line block ×3, first 2 shown]
	v_ldexp_f64 v[48:49], v[46:47], -2
	v_add_f64 v[16:17], v[46:47], -v[16:17]
	v_add_f64 v[46:47], v[62:63], -v[60:61]
	v_add_f64 v[42:43], v[42:43], -v[46:47]
	v_add_f64 v[46:47], v[62:63], -v[46:47]
	v_add_f64 v[46:47], v[60:61], -v[46:47]
	v_add_f64 v[42:43], v[42:43], v[46:47]
	v_add_f64 v[46:47], v[60:61], -v[58:59]
	v_add_f64 v[12:13], v[12:13], -v[46:47]
	;; [unrolled: 1-line block ×5, first 2 shown]
	v_add_f64 v[12:13], v[12:13], v[46:47]
	v_fract_f64_e32 v[50:51], v[48:49]
	v_add_f64 v[44:45], v[16:17], v[62:63]
	v_add_f64 v[12:13], v[12:13], v[42:43]
	v_fma_f64 v[10:11], v[2:3], v[10:11], -v[58:59]
	v_add_f64 v[16:17], v[44:45], -v[16:17]
	v_add_f64 v[10:11], v[10:11], v[12:13]
	v_ldexp_f64 v[12:13], v[50:51], 2
	v_cmp_neq_f64_e64 vcc, |v[48:49]|, s[50:51]
	v_add_f64 v[16:17], v[62:63], -v[16:17]
	v_add_f64 v[10:11], v[16:17], v[10:11]
	v_cndmask_b32_e32 v13, 0, v13, vcc
	v_cndmask_b32_e32 v12, 0, v12, vcc
	v_add_f64 v[16:17], v[44:45], v[12:13]
	v_cmp_gt_f64_e32 vcc, 0, v[16:17]
	s_nop 1
	v_cndmask_b32_e32 v91, 0, v55, vcc
	v_add_f64 v[12:13], v[12:13], v[90:91]
	v_add_f64 v[16:17], v[44:45], v[12:13]
	v_cvt_i32_f64_e32 v15, v[16:17]
	v_cvt_f64_i32_e32 v[16:17], v15
	v_add_f64 v[12:13], v[12:13], -v[16:17]
	v_add_f64 v[16:17], v[44:45], v[12:13]
	v_add_f64 v[12:13], v[16:17], -v[12:13]
	v_cmp_le_f64_e32 vcc, 0.5, v[16:17]
	v_add_f64 v[12:13], v[44:45], -v[12:13]
	v_add_f64 v[10:11], v[10:11], v[12:13]
	v_cndmask_b32_e32 v91, 0, v56, vcc
	v_add_f64 v[12:13], v[16:17], -v[90:91]
	v_add_f64 v[16:17], v[12:13], v[10:11]
	v_add_f64 v[12:13], v[16:17], -v[12:13]
	v_add_f64 v[10:11], v[10:11], -v[12:13]
	v_mul_f64 v[12:13], v[16:17], s[52:53]
	v_fma_f64 v[42:43], v[16:17], s[52:53], -v[12:13]
	v_fmac_f64_e32 v[42:43], s[54:55], v[16:17]
	v_fmac_f64_e32 v[42:43], s[52:53], v[10:11]
	v_add_f64 v[10:11], v[12:13], v[42:43]
	v_add_f64 v[12:13], v[10:11], -v[12:13]
	v_addc_co_u32_e64 v15, s[2:3], 0, v15, vcc
	v_add_f64 v[12:13], v[42:43], -v[12:13]
.LBB0_61:                               ;   in Loop: Header=BB0_34 Depth=1
	s_andn2_saveexec_b64 s[2:3], s[16:17]
	s_cbranch_execz .LBB0_63
; %bb.62:                               ;   in Loop: Header=BB0_34 Depth=1
	v_mul_f64 v[10:11], |v[0:1]|, s[56:57]
	v_rndne_f64_e32 v[16:17], v[10:11]
	s_mov_b32 s58, s52
	v_fma_f64 v[10:11], v[16:17], s[58:59], |v[0:1]|
	v_mul_f64 v[42:43], v[16:17], s[60:61]
	v_add_f64 v[46:47], v[10:11], v[42:43]
	v_fma_f64 v[12:13], s[60:61], v[16:17], v[10:11]
	s_mov_b32 s16, s60
	s_mov_b32 s17, s55
	v_add_f64 v[10:11], v[10:11], -v[46:47]
	v_fma_f64 v[44:45], s[16:17], v[16:17], v[42:43]
	v_add_f64 v[10:11], v[10:11], v[42:43]
	v_add_f64 v[42:43], v[46:47], -v[12:13]
	v_add_f64 v[10:11], v[42:43], v[10:11]
	v_add_f64 v[42:43], v[10:11], -v[44:45]
	v_fmac_f64_e32 v[42:43], s[62:63], v[16:17]
	v_add_f64 v[10:11], v[12:13], v[42:43]
	v_add_f64 v[12:13], v[10:11], -v[12:13]
	v_add_f64 v[12:13], v[42:43], -v[12:13]
	v_cvt_i32_f64_e32 v15, v[16:17]
.LBB0_63:                               ;   in Loop: Header=BB0_34 Depth=1
	s_or_b64 exec, exec, s[2:3]
	v_mul_f64 v[16:17], v[10:11], v[10:11]
	v_mov_b64_e32 v[48:49], v[24:25]
	v_mul_f64 v[42:43], v[16:17], 0.5
	v_fmac_f64_e32 v[48:49], s[66:67], v[16:17]
	v_mov_b64_e32 v[50:51], v[26:27]
	v_add_f64 v[44:45], -v[42:43], 1.0
	v_fmac_f64_e32 v[50:51], v[16:17], v[48:49]
	v_mov_b64_e32 v[48:49], v[28:29]
	v_add_f64 v[46:47], -v[44:45], 1.0
	v_fmac_f64_e32 v[48:49], v[16:17], v[50:51]
	v_mov_b64_e32 v[50:51], v[30:31]
	v_add_f64 v[42:43], v[46:47], -v[42:43]
	v_fmac_f64_e32 v[50:51], v[16:17], v[48:49]
	v_mov_b64_e32 v[48:49], v[32:33]
	v_mul_f64 v[46:47], v[16:17], v[16:17]
	v_fmac_f64_e32 v[48:49], v[16:17], v[50:51]
	v_fma_f64 v[42:43], v[10:11], -v[12:13], v[42:43]
	v_fmac_f64_e32 v[42:43], v[46:47], v[48:49]
	v_add_f64 v[42:43], v[44:45], v[42:43]
	v_mov_b64_e32 v[44:45], v[34:35]
	v_fmac_f64_e32 v[44:45], s[80:81], v[16:17]
	v_mov_b64_e32 v[46:47], v[36:37]
	v_fmac_f64_e32 v[46:47], v[16:17], v[44:45]
	;; [unrolled: 2-line block ×4, first 2 shown]
	v_mul_f64 v[44:45], v[10:11], -v[16:17]
	v_mul_f64 v[48:49], v[12:13], 0.5
	v_fmac_f64_e32 v[48:49], v[44:45], v[46:47]
	v_fma_f64 v[12:13], v[16:17], v[48:49], -v[12:13]
	v_fmac_f64_e32 v[12:13], s[76:77], v[44:45]
	v_add_f64 v[10:11], v[10:11], -v[12:13]
	v_and_b32_e32 v12, 1, v15
	v_xor_b32_e32 v11, 0x80000000, v11
	v_cmp_eq_u32_e32 vcc, 0, v12
	v_lshlrev_b32_e32 v12, 30, v15
                                        ; implicit-def: $vgpr15
	s_nop 0
	v_cndmask_b32_e32 v11, v11, v43, vcc
	v_cndmask_b32_e32 v10, v10, v42, vcc
	v_bitop3_b32 v11, v11, v12, s33 bitop3:0x78
	v_cmp_class_f64_e64 vcc, v[0:1], s96
                                        ; implicit-def: $vgpr12_vgpr13
	s_nop 1
	v_cndmask_b32_e32 v10, 0, v10, vcc
	v_cndmask_b32_e32 v11, v57, v11, vcc
	ds_write_b64 v126, v[10:11] offset:48
                                        ; implicit-def: $vgpr10_vgpr11
	s_and_saveexec_b64 s[2:3], s[4:5]
	s_xor_b64 s[16:17], exec, s[2:3]
	s_cbranch_execz .LBB0_65
; %bb.64:                               ;   in Loop: Header=BB0_34 Depth=1
	v_cmp_ge_f64_e64 s[2:3], |v[0:1]|, s[48:49]
	s_nop 1
	v_cndmask_b32_e64 v9, v14, v9, s[2:3]
	v_cndmask_b32_e64 v8, v0, v8, s[2:3]
	v_mul_f64 v[12:13], v[6:7], v[8:9]
	v_mul_f64 v[10:11], v[4:5], v[8:9]
	v_fma_f64 v[6:7], v[6:7], v[8:9], -v[12:13]
	v_add_f64 v[14:15], v[10:11], v[6:7]
	v_add_f64 v[46:47], v[14:15], -v[10:11]
	v_add_f64 v[6:7], v[6:7], -v[46:47]
	;; [unrolled: 1-line block ×4, first 2 shown]
	v_fma_f64 v[4:5], v[4:5], v[8:9], -v[10:11]
	v_mul_f64 v[10:11], v[2:3], v[8:9]
	v_add_f64 v[6:7], v[6:7], v[46:47]
	v_add_f64 v[46:47], v[10:11], v[4:5]
	;; [unrolled: 1-line block ×4, first 2 shown]
	v_ldexp_f64 v[42:43], v[16:17], -2
	v_add_f64 v[12:13], v[16:17], -v[12:13]
	v_add_f64 v[16:17], v[48:49], -v[46:47]
	;; [unrolled: 1-line block ×5, first 2 shown]
	v_add_f64 v[6:7], v[6:7], v[16:17]
	v_add_f64 v[16:17], v[46:47], -v[10:11]
	v_add_f64 v[4:5], v[4:5], -v[16:17]
	;; [unrolled: 1-line block ×4, first 2 shown]
	v_add_f64 v[4:5], v[4:5], v[16:17]
	v_fract_f64_e32 v[44:45], v[42:43]
	v_add_f64 v[4:5], v[4:5], v[6:7]
	v_fma_f64 v[2:3], v[2:3], v[8:9], -v[10:11]
	v_add_f64 v[12:13], v[14:15], -v[12:13]
	v_add_f64 v[2:3], v[2:3], v[4:5]
	v_ldexp_f64 v[4:5], v[44:45], 2
	v_cmp_neq_f64_e64 s[2:3], |v[42:43]|, s[50:51]
	v_add_f64 v[14:15], v[12:13], v[48:49]
	v_add_f64 v[12:13], v[14:15], -v[12:13]
	v_cndmask_b32_e64 v5, 0, v5, s[2:3]
	v_cndmask_b32_e64 v4, 0, v4, s[2:3]
	v_add_f64 v[6:7], v[14:15], v[4:5]
	v_cmp_gt_f64_e64 s[2:3], 0, v[6:7]
	v_add_f64 v[12:13], v[48:49], -v[12:13]
	v_add_f64 v[2:3], v[12:13], v[2:3]
	v_cndmask_b32_e64 v91, 0, v55, s[2:3]
	v_add_f64 v[4:5], v[4:5], v[90:91]
	v_add_f64 v[6:7], v[14:15], v[4:5]
	v_cvt_i32_f64_e32 v8, v[6:7]
	v_cvt_f64_i32_e32 v[6:7], v8
	v_add_f64 v[4:5], v[4:5], -v[6:7]
	v_add_f64 v[6:7], v[14:15], v[4:5]
	v_add_f64 v[4:5], v[6:7], -v[4:5]
	v_cmp_le_f64_e64 s[2:3], 0.5, v[6:7]
	v_add_f64 v[4:5], v[14:15], -v[4:5]
	v_add_f64 v[2:3], v[2:3], v[4:5]
	v_cndmask_b32_e64 v91, 0, v56, s[2:3]
	v_add_f64 v[4:5], v[6:7], -v[90:91]
	v_add_f64 v[6:7], v[4:5], v[2:3]
	v_add_f64 v[4:5], v[6:7], -v[4:5]
	v_add_f64 v[2:3], v[2:3], -v[4:5]
	v_mul_f64 v[4:5], v[6:7], s[52:53]
	v_addc_co_u32_e64 v15, s[4:5], 0, v8, s[2:3]
	v_fma_f64 v[8:9], v[6:7], s[52:53], -v[4:5]
	v_fmac_f64_e32 v[8:9], s[54:55], v[6:7]
	v_fmac_f64_e32 v[8:9], s[52:53], v[2:3]
	v_add_f64 v[10:11], v[4:5], v[8:9]
	v_add_f64 v[2:3], v[10:11], -v[4:5]
	v_add_f64 v[12:13], v[8:9], -v[2:3]
.LBB0_65:                               ;   in Loop: Header=BB0_34 Depth=1
	s_andn2_saveexec_b64 s[2:3], s[16:17]
	s_cbranch_execz .LBB0_67
; %bb.66:                               ;   in Loop: Header=BB0_34 Depth=1
	v_mul_f64 v[2:3], |v[0:1]|, s[56:57]
	v_rndne_f64_e32 v[2:3], v[2:3]
	s_mov_b32 s58, s52
	v_fma_f64 v[4:5], v[2:3], s[58:59], |v[0:1]|
	v_mul_f64 v[8:9], v[2:3], s[60:61]
	v_add_f64 v[12:13], v[4:5], v[8:9]
	v_fma_f64 v[6:7], s[60:61], v[2:3], v[4:5]
	s_mov_b32 s4, s60
	s_mov_b32 s5, s55
	v_add_f64 v[4:5], v[4:5], -v[12:13]
	v_fma_f64 v[10:11], s[4:5], v[2:3], v[8:9]
	v_add_f64 v[4:5], v[4:5], v[8:9]
	v_add_f64 v[8:9], v[12:13], -v[6:7]
	v_add_f64 v[4:5], v[8:9], v[4:5]
	v_add_f64 v[4:5], v[4:5], -v[10:11]
	v_fmac_f64_e32 v[4:5], s[62:63], v[2:3]
	v_add_f64 v[10:11], v[6:7], v[4:5]
	v_add_f64 v[6:7], v[10:11], -v[6:7]
	v_add_f64 v[12:13], v[4:5], -v[6:7]
	v_cvt_i32_f64_e32 v15, v[2:3]
.LBB0_67:                               ;   in Loop: Header=BB0_34 Depth=1
	s_or_b64 exec, exec, s[2:3]
	v_mul_f64 v[2:3], v[10:11], v[10:11]
	v_mov_b64_e32 v[16:17], v[24:25]
	v_mul_f64 v[4:5], v[2:3], 0.5
	v_fmac_f64_e32 v[16:17], s[66:67], v[2:3]
	v_mov_b64_e32 v[42:43], v[26:27]
	v_add_f64 v[6:7], -v[4:5], 1.0
	v_fmac_f64_e32 v[42:43], v[2:3], v[16:17]
	v_mov_b64_e32 v[16:17], v[28:29]
	v_add_f64 v[8:9], -v[6:7], 1.0
	v_fmac_f64_e32 v[16:17], v[2:3], v[42:43]
	v_mov_b64_e32 v[42:43], v[30:31]
	v_add_f64 v[4:5], v[8:9], -v[4:5]
	v_fmac_f64_e32 v[42:43], v[2:3], v[16:17]
	v_mov_b64_e32 v[16:17], v[32:33]
	v_mul_f64 v[8:9], v[2:3], v[2:3]
	v_fmac_f64_e32 v[16:17], v[2:3], v[42:43]
	v_fma_f64 v[4:5], v[10:11], -v[12:13], v[4:5]
	v_fmac_f64_e32 v[4:5], v[8:9], v[16:17]
	v_add_f64 v[4:5], v[6:7], v[4:5]
	v_mov_b64_e32 v[6:7], v[34:35]
	v_fmac_f64_e32 v[6:7], s[80:81], v[2:3]
	v_mov_b64_e32 v[8:9], v[36:37]
	v_fmac_f64_e32 v[8:9], v[2:3], v[6:7]
	;; [unrolled: 2-line block ×4, first 2 shown]
	v_mul_f64 v[6:7], v[10:11], -v[2:3]
	v_mul_f64 v[16:17], v[12:13], 0.5
	v_fmac_f64_e32 v[16:17], v[6:7], v[8:9]
	v_fma_f64 v[2:3], v[2:3], v[16:17], -v[12:13]
	v_fmac_f64_e32 v[2:3], s[76:77], v[6:7]
	v_and_b32_e32 v0, 1, v15
	v_add_f64 v[2:3], v[10:11], -v[2:3]
	v_cmp_eq_u32_e64 s[2:3], 0, v0
	s_nop 1
	v_cndmask_b32_e64 v0, v4, v2, s[2:3]
	v_cndmask_b32_e64 v2, v5, v3, s[2:3]
	v_lshlrev_b32_e32 v3, 30, v15
	v_xor_b32_e32 v1, v3, v1
	v_bitop3_b32 v1, v2, v1, s33 bitop3:0x78
	v_cndmask_b32_e32 v0, 0, v0, vcc
	v_cndmask_b32_e64 v1, v67, -v1, vcc
	ds_write_b64 v126, v[0:1] offset:56
	v_mad_u64_u32 v[0:1], s[2:3], v96, s15, v[98:99]
	v_cndmask_b32_e64 v1, 0, 1, s[0:1]
	v_sub_u32_e32 v0, v0, v1
	v_ashrrev_i32_e32 v1, 31, v0
	v_readlane_b32 s2, v127, 6
	v_lshlrev_b64 v[0:1], 5, v[0:1]
	v_readlane_b32 s3, v127, 7
	s_nop 1
	v_lshl_add_u64 v[4:5], s[2:3], 0, v[0:1]
	global_load_dwordx4 v[0:3], v[4:5], off offset:16
	s_nop 0
	global_load_dwordx4 v[4:7], v[4:5], off
	s_waitcnt vmcnt(1)
	v_mul_f64 v[0:1], v[18:19], v[0:1]
	s_waitcnt vmcnt(0)
	v_mul_f64 v[102:103], v[18:19], v[4:5]
	v_mul_f64 v[104:105], v[18:19], v[6:7]
	v_cmp_lt_i32_e32 vcc, v2, v3
	s_and_saveexec_b64 s[2:3], vcc
	s_cbranch_execz .LBB0_71
; %bb.68:                               ;   in Loop: Header=BB0_34 Depth=1
	v_readlane_b32 s4, v127, 4
	v_readlane_b32 s5, v127, 5
	v_mov_b64_e32 v[6:7], s[34:35]
	v_mad_u64_u32 v[4:5], s[4:5], v96, s4, v[2:3]
	v_mad_i64_i32 v[16:17], s[4:5], v4, s97, v[6:7]
	s_mov_b64 s[4:5], 0
.LBB0_69:                               ;   Parent Loop BB0_34 Depth=1
                                        ; =>  This Inner Loop Header: Depth=2
	global_load_dwordx4 v[4:7], v[16:17], off offset:48
	global_load_dwordx4 v[8:11], v[16:17], off offset:32
	;; [unrolled: 1-line block ×3, first 2 shown]
	global_load_dwordx4 v[42:45], v[16:17], off
	global_load_sshort v64, v[16:17], off offset:64
	v_add_u32_e32 v2, 1, v2
	s_waitcnt vmcnt(1)
	v_add_f64 v[42:43], v[42:43], -v[20:21]
	v_mul_f64 v[46:47], v[44:45], v[44:45]
	v_fmac_f64_e32 v[46:47], v[42:43], v[42:43]
	v_fma_f64 v[48:49], 0, v[42:43], v[44:45]
	v_div_scale_f64 v[50:51], s[16:17], v[46:47], v[46:47], v[48:49]
	v_rcp_f64_e32 v[58:59], v[50:51]
	v_fmac_f64_e32 v[42:43], 0x80000000, v[44:45]
	v_div_scale_f64 v[44:45], s[16:17], v[46:47], v[46:47], v[42:43]
	v_fma_f64 v[60:61], -v[50:51], v[58:59], 1.0
	v_fmac_f64_e32 v[58:59], v[58:59], v[60:61]
	v_fma_f64 v[60:61], -v[50:51], v[58:59], 1.0
	v_fmac_f64_e32 v[58:59], v[58:59], v[60:61]
	v_div_scale_f64 v[60:61], vcc, v[48:49], v[46:47], v[48:49]
	v_mul_f64 v[62:63], v[60:61], v[58:59]
	v_fma_f64 v[50:51], -v[50:51], v[62:63], v[60:61]
	s_nop 1
	v_div_fmas_f64 v[50:51], v[50:51], v[58:59], v[62:63]
	v_div_fixup_f64 v[48:49], v[50:51], v[46:47], v[48:49]
	v_rcp_f64_e32 v[50:51], v[44:45]
	s_nop 0
	v_fma_f64 v[58:59], -v[44:45], v[50:51], 1.0
	v_fmac_f64_e32 v[50:51], v[50:51], v[58:59]
	v_fma_f64 v[58:59], -v[44:45], v[50:51], 1.0
	v_fmac_f64_e32 v[50:51], v[50:51], v[58:59]
	v_div_scale_f64 v[58:59], vcc, v[42:43], v[46:47], v[42:43]
	v_mul_f64 v[60:61], v[58:59], v[50:51]
	v_fma_f64 v[44:45], -v[44:45], v[60:61], v[58:59]
	s_nop 1
	v_div_fmas_f64 v[44:45], v[44:45], v[50:51], v[60:61]
	v_div_fixup_f64 v[42:43], v[44:45], v[46:47], v[42:43]
	v_mul_f64 v[44:45], v[42:43], 0
	v_fmac_f64_e32 v[44:45], v[18:19], v[48:49]
	v_div_scale_f64 v[46:47], s[16:17], v[22:23], v[22:23], v[44:45]
	v_rcp_f64_e32 v[50:51], v[46:47]
	s_mov_b32 s16, 0
	s_brev_b32 s17, 1
	v_fma_f64 v[58:59], -v[46:47], v[50:51], 1.0
	v_fmac_f64_e32 v[50:51], v[50:51], v[58:59]
	v_fma_f64 v[58:59], -v[46:47], v[50:51], 1.0
	v_fmac_f64_e32 v[50:51], v[50:51], v[58:59]
	v_div_scale_f64 v[58:59], vcc, v[44:45], v[22:23], v[44:45]
	v_mul_f64 v[60:61], v[58:59], v[50:51]
	v_fma_f64 v[46:47], -v[46:47], v[60:61], v[58:59]
	s_nop 1
	v_div_fmas_f64 v[46:47], v[46:47], v[50:51], v[60:61]
	v_div_fixup_f64 v[46:47], v[46:47], v[22:23], v[44:45]
	v_mul_f64 v[44:45], v[48:49], s[16:17]
	v_fmac_f64_e32 v[44:45], v[18:19], v[42:43]
	v_div_scale_f64 v[42:43], s[16:17], v[22:23], v[22:23], v[44:45]
	v_rcp_f64_e32 v[48:49], v[42:43]
	s_mov_b64 s[16:17], 0x48
	v_lshl_add_u64 v[16:17], v[16:17], 0, s[16:17]
	v_fma_f64 v[50:51], -v[42:43], v[48:49], 1.0
	v_fmac_f64_e32 v[48:49], v[48:49], v[50:51]
	v_fma_f64 v[50:51], -v[42:43], v[48:49], 1.0
	v_fmac_f64_e32 v[48:49], v[48:49], v[50:51]
	v_div_scale_f64 v[50:51], vcc, v[44:45], v[22:23], v[44:45]
	v_mul_f64 v[58:59], v[50:51], v[48:49]
	v_fma_f64 v[42:43], -v[42:43], v[58:59], v[50:51]
	s_nop 1
	v_div_fmas_f64 v[42:43], v[42:43], v[48:49], v[58:59]
	v_div_fixup_f64 v[48:49], v[42:43], v[22:23], v[44:45]
	s_waitcnt vmcnt(0)
	v_lshl_add_u32 v42, v64, 4, v126
	ds_read_b128 v[42:45], v42
	v_mul_f64 v[10:11], v[10:11], v[48:49]
	v_mul_f64 v[6:7], v[6:7], v[48:49]
	v_fma_f64 v[8:9], v[8:9], v[46:47], -v[10:11]
	v_fma_f64 v[4:5], v[4:5], v[46:47], -v[6:7]
	s_waitcnt lgkmcnt(0)
	v_mul_f64 v[50:51], v[48:49], v[44:45]
	v_mul_f64 v[44:45], v[46:47], v[44:45]
	v_fmac_f64_e32 v[44:45], v[48:49], v[42:43]
	v_fma_f64 v[50:51], v[46:47], v[42:43], -v[50:51]
	v_mul_f64 v[14:15], v[14:15], v[44:45]
	v_fma_f64 v[12:13], v[12:13], v[50:51], -v[14:15]
	v_cmp_ge_i32_e32 vcc, v2, v3
	v_add_f64 v[102:103], v[102:103], v[12:13]
	v_add_f64 v[104:105], v[104:105], v[8:9]
	;; [unrolled: 1-line block ×3, first 2 shown]
	s_or_b64 s[4:5], vcc, s[4:5]
	s_andn2_b64 exec, exec, s[4:5]
	s_cbranch_execnz .LBB0_69
; %bb.70:                               ;   in Loop: Header=BB0_34 Depth=1
	s_or_b64 exec, exec, s[4:5]
.LBB0_71:                               ;   in Loop: Header=BB0_34 Depth=1
	s_or_b64 exec, exec, s[2:3]
	v_add_f64 v[2:3], v[102:103], -v[104:105]
	s_mov_b64 s[2:3], 0
.LBB0_72:                               ;   in Loop: Header=BB0_34 Depth=1
	s_and_b64 vcc, exec, s[2:3]
	s_cbranch_vccz .LBB0_33
; %bb.73:                               ;   in Loop: Header=BB0_34 Depth=1
	global_load_dwordx2 v[0:1], v[100:101], off
                                        ; implicit-def: $vgpr15
                                        ; implicit-def: $vgpr10_vgpr11
                                        ; implicit-def: $vgpr12_vgpr13
	s_waitcnt vmcnt(0)
	v_mul_f64 v[0:1], v[20:21], v[0:1]
	v_add_f64 v[0:1], v[0:1], v[0:1]
	v_cmp_nlt_f64_e64 s[4:5], |v[0:1]|, s[46:47]
	v_trig_preop_f64 v[6:7], |v[0:1]|, 0
	v_trig_preop_f64 v[4:5], |v[0:1]|, 1
	v_ldexp_f64 v[8:9], |v[0:1]|, s19
	v_trig_preop_f64 v[2:3], |v[0:1]|, 2
	v_and_b32_e32 v14, 0x7fffffff, v1
	s_and_saveexec_b64 s[2:3], s[4:5]
	s_xor_b64 s[16:17], exec, s[2:3]
	s_cbranch_execz .LBB0_75
; %bb.74:                               ;   in Loop: Header=BB0_34 Depth=1
	v_cmp_ge_f64_e64 vcc, |v[0:1]|, s[48:49]
	s_nop 1
	v_cndmask_b32_e32 v11, v14, v9, vcc
	v_cndmask_b32_e32 v10, v0, v8, vcc
	v_mul_f64 v[16:17], v[6:7], v[10:11]
	v_mul_f64 v[12:13], v[4:5], v[10:11]
	v_fma_f64 v[42:43], v[6:7], v[10:11], -v[16:17]
	v_add_f64 v[44:45], v[12:13], v[42:43]
	v_add_f64 v[58:59], v[44:45], -v[12:13]
	v_add_f64 v[42:43], v[42:43], -v[58:59]
	;; [unrolled: 1-line block ×4, first 2 shown]
	v_add_f64 v[42:43], v[42:43], v[58:59]
	v_fma_f64 v[12:13], v[4:5], v[10:11], -v[12:13]
	v_mul_f64 v[58:59], v[2:3], v[10:11]
	v_add_f64 v[60:61], v[58:59], v[12:13]
	v_add_f64 v[46:47], v[16:17], v[44:45]
	;; [unrolled: 1-line block ×3, first 2 shown]
	v_ldexp_f64 v[48:49], v[46:47], -2
	v_add_f64 v[16:17], v[46:47], -v[16:17]
	v_add_f64 v[46:47], v[62:63], -v[60:61]
	;; [unrolled: 1-line block ×5, first 2 shown]
	v_add_f64 v[42:43], v[42:43], v[46:47]
	v_add_f64 v[46:47], v[60:61], -v[58:59]
	v_add_f64 v[12:13], v[12:13], -v[46:47]
	;; [unrolled: 1-line block ×5, first 2 shown]
	v_add_f64 v[12:13], v[12:13], v[46:47]
	v_fract_f64_e32 v[50:51], v[48:49]
	v_add_f64 v[44:45], v[16:17], v[62:63]
	v_add_f64 v[12:13], v[12:13], v[42:43]
	v_fma_f64 v[10:11], v[2:3], v[10:11], -v[58:59]
	v_add_f64 v[16:17], v[44:45], -v[16:17]
	v_add_f64 v[10:11], v[10:11], v[12:13]
	v_ldexp_f64 v[12:13], v[50:51], 2
	v_cmp_neq_f64_e64 vcc, |v[48:49]|, s[50:51]
	v_add_f64 v[16:17], v[62:63], -v[16:17]
	v_add_f64 v[10:11], v[16:17], v[10:11]
	v_cndmask_b32_e32 v13, 0, v13, vcc
	v_cndmask_b32_e32 v12, 0, v12, vcc
	v_add_f64 v[16:17], v[44:45], v[12:13]
	v_cmp_gt_f64_e32 vcc, 0, v[16:17]
	s_nop 1
	v_cndmask_b32_e32 v91, 0, v55, vcc
	v_add_f64 v[12:13], v[12:13], v[90:91]
	v_add_f64 v[16:17], v[44:45], v[12:13]
	v_cvt_i32_f64_e32 v15, v[16:17]
	v_cvt_f64_i32_e32 v[16:17], v15
	v_add_f64 v[12:13], v[12:13], -v[16:17]
	v_add_f64 v[16:17], v[44:45], v[12:13]
	v_add_f64 v[12:13], v[16:17], -v[12:13]
	v_cmp_le_f64_e32 vcc, 0.5, v[16:17]
	v_add_f64 v[12:13], v[44:45], -v[12:13]
	v_add_f64 v[10:11], v[10:11], v[12:13]
	v_cndmask_b32_e32 v91, 0, v56, vcc
	v_add_f64 v[12:13], v[16:17], -v[90:91]
	v_add_f64 v[16:17], v[12:13], v[10:11]
	v_add_f64 v[12:13], v[16:17], -v[12:13]
	v_add_f64 v[10:11], v[10:11], -v[12:13]
	v_mul_f64 v[12:13], v[16:17], s[52:53]
	v_fma_f64 v[42:43], v[16:17], s[52:53], -v[12:13]
	v_fmac_f64_e32 v[42:43], s[54:55], v[16:17]
	v_fmac_f64_e32 v[42:43], s[52:53], v[10:11]
	v_add_f64 v[10:11], v[12:13], v[42:43]
	v_add_f64 v[12:13], v[10:11], -v[12:13]
	v_addc_co_u32_e64 v15, s[2:3], 0, v15, vcc
	v_add_f64 v[12:13], v[42:43], -v[12:13]
.LBB0_75:                               ;   in Loop: Header=BB0_34 Depth=1
	s_andn2_saveexec_b64 s[2:3], s[16:17]
	s_cbranch_execz .LBB0_77
; %bb.76:                               ;   in Loop: Header=BB0_34 Depth=1
	v_mul_f64 v[10:11], |v[0:1]|, s[56:57]
	v_rndne_f64_e32 v[16:17], v[10:11]
	s_mov_b32 s58, s52
	v_fma_f64 v[10:11], v[16:17], s[58:59], |v[0:1]|
	v_mul_f64 v[42:43], v[16:17], s[60:61]
	v_add_f64 v[46:47], v[10:11], v[42:43]
	v_fma_f64 v[12:13], s[60:61], v[16:17], v[10:11]
	s_mov_b32 s16, s60
	s_mov_b32 s17, s55
	v_add_f64 v[10:11], v[10:11], -v[46:47]
	v_fma_f64 v[44:45], s[16:17], v[16:17], v[42:43]
	v_add_f64 v[10:11], v[10:11], v[42:43]
	v_add_f64 v[42:43], v[46:47], -v[12:13]
	v_add_f64 v[10:11], v[42:43], v[10:11]
	v_add_f64 v[42:43], v[10:11], -v[44:45]
	v_fmac_f64_e32 v[42:43], s[62:63], v[16:17]
	v_add_f64 v[10:11], v[12:13], v[42:43]
	v_add_f64 v[12:13], v[10:11], -v[12:13]
	v_add_f64 v[12:13], v[42:43], -v[12:13]
	v_cvt_i32_f64_e32 v15, v[16:17]
.LBB0_77:                               ;   in Loop: Header=BB0_34 Depth=1
	s_or_b64 exec, exec, s[2:3]
	v_mul_f64 v[16:17], v[10:11], v[10:11]
	v_mov_b64_e32 v[48:49], v[24:25]
	v_mul_f64 v[42:43], v[16:17], 0.5
	v_fmac_f64_e32 v[48:49], s[66:67], v[16:17]
	v_mov_b64_e32 v[50:51], v[26:27]
	v_add_f64 v[44:45], -v[42:43], 1.0
	v_fmac_f64_e32 v[50:51], v[16:17], v[48:49]
	v_mov_b64_e32 v[48:49], v[28:29]
	v_add_f64 v[46:47], -v[44:45], 1.0
	v_fmac_f64_e32 v[48:49], v[16:17], v[50:51]
	v_mov_b64_e32 v[50:51], v[30:31]
	v_add_f64 v[42:43], v[46:47], -v[42:43]
	v_fmac_f64_e32 v[50:51], v[16:17], v[48:49]
	v_mov_b64_e32 v[48:49], v[32:33]
	v_mul_f64 v[46:47], v[16:17], v[16:17]
	v_fmac_f64_e32 v[48:49], v[16:17], v[50:51]
	v_fma_f64 v[42:43], v[10:11], -v[12:13], v[42:43]
	v_fmac_f64_e32 v[42:43], v[46:47], v[48:49]
	v_add_f64 v[42:43], v[44:45], v[42:43]
	v_mov_b64_e32 v[44:45], v[34:35]
	v_fmac_f64_e32 v[44:45], s[80:81], v[16:17]
	v_mov_b64_e32 v[46:47], v[36:37]
	v_fmac_f64_e32 v[46:47], v[16:17], v[44:45]
	;; [unrolled: 2-line block ×4, first 2 shown]
	v_mul_f64 v[44:45], v[10:11], -v[16:17]
	v_mul_f64 v[48:49], v[12:13], 0.5
	v_fmac_f64_e32 v[48:49], v[44:45], v[46:47]
	v_fma_f64 v[12:13], v[16:17], v[48:49], -v[12:13]
	v_fmac_f64_e32 v[12:13], s[76:77], v[44:45]
	v_add_f64 v[10:11], v[10:11], -v[12:13]
	v_and_b32_e32 v12, 1, v15
	v_xor_b32_e32 v11, 0x80000000, v11
	v_cmp_eq_u32_e32 vcc, 0, v12
	v_lshlrev_b32_e32 v12, 30, v15
                                        ; implicit-def: $vgpr15
	s_nop 0
	v_cndmask_b32_e32 v11, v11, v43, vcc
	v_cndmask_b32_e32 v10, v10, v42, vcc
	v_bitop3_b32 v11, v11, v12, s33 bitop3:0x78
	v_cmp_class_f64_e64 vcc, v[0:1], s96
                                        ; implicit-def: $vgpr12_vgpr13
	s_nop 1
	v_cndmask_b32_e32 v10, 0, v10, vcc
	v_cndmask_b32_e32 v11, v57, v11, vcc
	scratch_store_dwordx2 off, v[10:11], off
                                        ; implicit-def: $vgpr10_vgpr11
	s_and_saveexec_b64 s[2:3], s[4:5]
	s_xor_b64 s[16:17], exec, s[2:3]
	s_cbranch_execz .LBB0_79
; %bb.78:                               ;   in Loop: Header=BB0_34 Depth=1
	v_cmp_ge_f64_e64 s[2:3], |v[0:1]|, s[48:49]
	s_nop 1
	v_cndmask_b32_e64 v9, v14, v9, s[2:3]
	v_cndmask_b32_e64 v8, v0, v8, s[2:3]
	v_mul_f64 v[12:13], v[6:7], v[8:9]
	v_mul_f64 v[10:11], v[4:5], v[8:9]
	v_fma_f64 v[6:7], v[6:7], v[8:9], -v[12:13]
	v_add_f64 v[14:15], v[10:11], v[6:7]
	v_add_f64 v[46:47], v[14:15], -v[10:11]
	v_add_f64 v[6:7], v[6:7], -v[46:47]
	;; [unrolled: 1-line block ×4, first 2 shown]
	v_fma_f64 v[4:5], v[4:5], v[8:9], -v[10:11]
	v_mul_f64 v[10:11], v[2:3], v[8:9]
	v_add_f64 v[6:7], v[6:7], v[46:47]
	v_add_f64 v[46:47], v[10:11], v[4:5]
	;; [unrolled: 1-line block ×4, first 2 shown]
	v_ldexp_f64 v[42:43], v[16:17], -2
	v_add_f64 v[12:13], v[16:17], -v[12:13]
	v_add_f64 v[16:17], v[48:49], -v[46:47]
	;; [unrolled: 1-line block ×5, first 2 shown]
	v_add_f64 v[6:7], v[6:7], v[16:17]
	v_add_f64 v[16:17], v[46:47], -v[10:11]
	v_add_f64 v[4:5], v[4:5], -v[16:17]
	v_add_f64 v[16:17], v[46:47], -v[16:17]
	v_add_f64 v[16:17], v[10:11], -v[16:17]
	v_add_f64 v[4:5], v[4:5], v[16:17]
	v_fract_f64_e32 v[44:45], v[42:43]
	v_add_f64 v[4:5], v[4:5], v[6:7]
	v_fma_f64 v[2:3], v[2:3], v[8:9], -v[10:11]
	v_add_f64 v[12:13], v[14:15], -v[12:13]
	v_add_f64 v[2:3], v[2:3], v[4:5]
	v_ldexp_f64 v[4:5], v[44:45], 2
	v_cmp_neq_f64_e64 s[2:3], |v[42:43]|, s[50:51]
	v_add_f64 v[14:15], v[12:13], v[48:49]
	v_add_f64 v[12:13], v[14:15], -v[12:13]
	v_cndmask_b32_e64 v5, 0, v5, s[2:3]
	v_cndmask_b32_e64 v4, 0, v4, s[2:3]
	v_add_f64 v[6:7], v[14:15], v[4:5]
	v_cmp_gt_f64_e64 s[2:3], 0, v[6:7]
	v_add_f64 v[12:13], v[48:49], -v[12:13]
	v_add_f64 v[2:3], v[12:13], v[2:3]
	v_cndmask_b32_e64 v91, 0, v55, s[2:3]
	v_add_f64 v[4:5], v[4:5], v[90:91]
	v_add_f64 v[6:7], v[14:15], v[4:5]
	v_cvt_i32_f64_e32 v8, v[6:7]
	v_cvt_f64_i32_e32 v[6:7], v8
	v_add_f64 v[4:5], v[4:5], -v[6:7]
	v_add_f64 v[6:7], v[14:15], v[4:5]
	v_add_f64 v[4:5], v[6:7], -v[4:5]
	v_cmp_le_f64_e64 s[2:3], 0.5, v[6:7]
	v_add_f64 v[4:5], v[14:15], -v[4:5]
	v_add_f64 v[2:3], v[2:3], v[4:5]
	v_cndmask_b32_e64 v91, 0, v56, s[2:3]
	v_add_f64 v[4:5], v[6:7], -v[90:91]
	v_add_f64 v[6:7], v[4:5], v[2:3]
	v_add_f64 v[4:5], v[6:7], -v[4:5]
	v_add_f64 v[2:3], v[2:3], -v[4:5]
	v_mul_f64 v[4:5], v[6:7], s[52:53]
	v_addc_co_u32_e64 v15, s[4:5], 0, v8, s[2:3]
	v_fma_f64 v[8:9], v[6:7], s[52:53], -v[4:5]
	v_fmac_f64_e32 v[8:9], s[54:55], v[6:7]
	v_fmac_f64_e32 v[8:9], s[52:53], v[2:3]
	v_add_f64 v[10:11], v[4:5], v[8:9]
	v_add_f64 v[2:3], v[10:11], -v[4:5]
	v_add_f64 v[12:13], v[8:9], -v[2:3]
.LBB0_79:                               ;   in Loop: Header=BB0_34 Depth=1
	s_andn2_saveexec_b64 s[2:3], s[16:17]
	s_cbranch_execz .LBB0_81
; %bb.80:                               ;   in Loop: Header=BB0_34 Depth=1
	v_mul_f64 v[2:3], |v[0:1]|, s[56:57]
	v_rndne_f64_e32 v[2:3], v[2:3]
	s_mov_b32 s58, s52
	v_fma_f64 v[4:5], v[2:3], s[58:59], |v[0:1]|
	v_mul_f64 v[8:9], v[2:3], s[60:61]
	v_add_f64 v[12:13], v[4:5], v[8:9]
	v_fma_f64 v[6:7], s[60:61], v[2:3], v[4:5]
	s_mov_b32 s4, s60
	s_mov_b32 s5, s55
	v_add_f64 v[4:5], v[4:5], -v[12:13]
	v_fma_f64 v[10:11], s[4:5], v[2:3], v[8:9]
	v_add_f64 v[4:5], v[4:5], v[8:9]
	v_add_f64 v[8:9], v[12:13], -v[6:7]
	v_add_f64 v[4:5], v[8:9], v[4:5]
	v_add_f64 v[4:5], v[4:5], -v[10:11]
	v_fmac_f64_e32 v[4:5], s[62:63], v[2:3]
	v_add_f64 v[10:11], v[6:7], v[4:5]
	v_add_f64 v[6:7], v[10:11], -v[6:7]
	v_add_f64 v[12:13], v[4:5], -v[6:7]
	v_cvt_i32_f64_e32 v15, v[2:3]
.LBB0_81:                               ;   in Loop: Header=BB0_34 Depth=1
	s_or_b64 exec, exec, s[2:3]
	v_mul_f64 v[2:3], v[10:11], v[10:11]
	v_mov_b64_e32 v[16:17], v[24:25]
	v_mul_f64 v[4:5], v[2:3], 0.5
	v_fmac_f64_e32 v[16:17], s[66:67], v[2:3]
	v_mov_b64_e32 v[42:43], v[26:27]
	v_add_f64 v[6:7], -v[4:5], 1.0
	v_fmac_f64_e32 v[42:43], v[2:3], v[16:17]
	v_mov_b64_e32 v[16:17], v[28:29]
	v_add_f64 v[8:9], -v[6:7], 1.0
	v_fmac_f64_e32 v[16:17], v[2:3], v[42:43]
	v_mov_b64_e32 v[42:43], v[30:31]
	v_add_f64 v[4:5], v[8:9], -v[4:5]
	v_fmac_f64_e32 v[42:43], v[2:3], v[16:17]
	v_mov_b64_e32 v[16:17], v[32:33]
	v_mul_f64 v[8:9], v[2:3], v[2:3]
	v_fmac_f64_e32 v[16:17], v[2:3], v[42:43]
	v_fma_f64 v[4:5], v[10:11], -v[12:13], v[4:5]
	v_fmac_f64_e32 v[4:5], v[8:9], v[16:17]
	v_add_f64 v[4:5], v[6:7], v[4:5]
	v_mov_b64_e32 v[6:7], v[34:35]
	v_fmac_f64_e32 v[6:7], s[80:81], v[2:3]
	v_mov_b64_e32 v[8:9], v[36:37]
	v_fmac_f64_e32 v[8:9], v[2:3], v[6:7]
	;; [unrolled: 2-line block ×4, first 2 shown]
	v_mul_f64 v[6:7], v[10:11], -v[2:3]
	v_mul_f64 v[16:17], v[12:13], 0.5
	v_fmac_f64_e32 v[16:17], v[6:7], v[8:9]
	v_fma_f64 v[2:3], v[2:3], v[16:17], -v[12:13]
	v_fmac_f64_e32 v[2:3], s[76:77], v[6:7]
	v_and_b32_e32 v0, 1, v15
	v_add_f64 v[2:3], v[10:11], -v[2:3]
	v_cmp_eq_u32_e64 s[2:3], 0, v0
	s_nop 1
	v_cndmask_b32_e64 v0, v4, v2, s[2:3]
	v_cndmask_b32_e64 v2, v5, v3, s[2:3]
	v_lshlrev_b32_e32 v3, 30, v15
	v_xor_b32_e32 v1, v3, v1
	v_bitop3_b32 v1, v2, v1, s33 bitop3:0x78
	v_cndmask_b32_e32 v0, 0, v0, vcc
	v_cndmask_b32_e64 v1, v67, -v1, vcc
	scratch_store_dwordx2 off, v[0:1], off offset:8
	global_load_dwordx2 v[0:1], v[100:101], off offset:8
                                        ; implicit-def: $vgpr15
	s_waitcnt vmcnt(0)
	v_mul_f64 v[2:3], v[20:21], v[0:1]
	v_and_b32_e32 v5, 0x7fffffff, v3
	v_mov_b32_e32 v4, v2
	v_div_scale_f64 v[6:7], s[4:5], v[4:5], v[4:5], 1.0
	v_rcp_f64_e32 v[8:9], v[6:7]
	v_cmp_gt_f64_e64 s[2:3], |v[2:3]|, 1.0
	s_mov_b32 s4, 0xb5e68a13
	s_mov_b32 s5, 0x3eeba404
	v_fma_f64 v[10:11], -v[6:7], v[8:9], 1.0
	v_fmac_f64_e32 v[8:9], v[8:9], v[10:11]
	v_fma_f64 v[10:11], -v[6:7], v[8:9], 1.0
	v_fmac_f64_e32 v[8:9], v[8:9], v[10:11]
	v_div_scale_f64 v[10:11], vcc, 1.0, v[4:5], 1.0
	v_mul_f64 v[12:13], v[10:11], v[8:9]
	v_fma_f64 v[6:7], -v[6:7], v[12:13], v[10:11]
	scratch_load_dwordx2 v[10:11], off, off offset:72 ; 8-byte Folded Reload
	s_nop 0
	v_div_fmas_f64 v[6:7], v[6:7], v[8:9], v[12:13]
	scratch_load_dwordx2 v[8:9], off, off offset:64 ; 8-byte Folded Reload
	scratch_load_dwordx2 v[12:13], off, off offset:192 ; 8-byte Folded Reload
	v_div_fixup_f64 v[6:7], v[6:7], |v[2:3]|, 1.0
	v_cndmask_b32_e64 v5, v5, v7, s[2:3]
	v_cndmask_b32_e64 v4, v2, v6, s[2:3]
	v_mul_f64 v[6:7], v[4:5], v[4:5]
	s_waitcnt vmcnt(1)
	v_fmac_f64_e32 v[8:9], s[4:5], v[6:7]
	v_fmac_f64_e32 v[10:11], v[6:7], v[8:9]
	scratch_load_dwordx2 v[8:9], off, off offset:80 ; 8-byte Folded Reload
	s_mov_b32 s4, 0x336a0500
	s_mov_b32 s5, 0x3fedd9ad
	s_waitcnt vmcnt(0)
	v_fmac_f64_e32 v[8:9], v[6:7], v[10:11]
	scratch_load_dwordx2 v[10:11], off, off offset:88 ; 8-byte Folded Reload
	s_waitcnt vmcnt(0)
	v_fmac_f64_e32 v[10:11], v[6:7], v[8:9]
	scratch_load_dwordx2 v[8:9], off, off offset:96 ; 8-byte Folded Reload
	;; [unrolled: 3-line block ×13, first 2 shown]
	s_waitcnt vmcnt(0)
	v_fmac_f64_e32 v[10:11], v[6:7], v[8:9]
	v_fmac_f64_e32 v[12:13], v[6:7], v[10:11]
	v_mov_b64_e32 v[8:9], v[78:79]
	v_fmac_f64_e32 v[8:9], v[6:7], v[12:13]
	v_mov_b64_e32 v[10:11], v[80:81]
	v_fmac_f64_e32 v[10:11], v[6:7], v[8:9]
	v_mul_f64 v[6:7], v[6:7], v[10:11]
	v_fmac_f64_e32 v[4:5], v[4:5], v[6:7]
	scratch_load_dwordx2 v[6:7], off, off offset:200 ; 8-byte Folded Reload
                                        ; implicit-def: $vgpr10_vgpr11
                                        ; implicit-def: $vgpr12_vgpr13
	s_waitcnt vmcnt(0)
	v_fma_f64 v[6:7], s[4:5], v[6:7], -v[4:5]
	v_cndmask_b32_e64 v2, v4, v6, s[2:3]
	v_cndmask_b32_e64 v4, v5, v7, s[2:3]
	s_brev_b32 s2, -2
	v_bfi_b32 v3, s2, v4, v3
	v_fmac_f64_e32 v[2:3], v[20:21], v[0:1]
	v_add_f64 v[0:1], v[2:3], v[2:3]
	v_cmp_nlt_f64_e64 s[4:5], |v[0:1]|, s[46:47]
	v_trig_preop_f64 v[6:7], |v[0:1]|, 0
	v_trig_preop_f64 v[4:5], |v[0:1]|, 1
	v_ldexp_f64 v[8:9], |v[0:1]|, s19
	v_trig_preop_f64 v[2:3], |v[0:1]|, 2
	v_and_b32_e32 v14, 0x7fffffff, v1
	s_and_saveexec_b64 s[2:3], s[4:5]
	s_xor_b64 s[16:17], exec, s[2:3]
	s_cbranch_execz .LBB0_83
; %bb.82:                               ;   in Loop: Header=BB0_34 Depth=1
	v_cmp_ge_f64_e64 vcc, |v[0:1]|, s[48:49]
	s_nop 1
	v_cndmask_b32_e32 v11, v14, v9, vcc
	v_cndmask_b32_e32 v10, v0, v8, vcc
	v_mul_f64 v[16:17], v[6:7], v[10:11]
	v_mul_f64 v[12:13], v[4:5], v[10:11]
	v_fma_f64 v[42:43], v[6:7], v[10:11], -v[16:17]
	v_add_f64 v[44:45], v[12:13], v[42:43]
	v_add_f64 v[58:59], v[44:45], -v[12:13]
	v_add_f64 v[42:43], v[42:43], -v[58:59]
	;; [unrolled: 1-line block ×4, first 2 shown]
	v_add_f64 v[42:43], v[42:43], v[58:59]
	v_fma_f64 v[12:13], v[4:5], v[10:11], -v[12:13]
	v_mul_f64 v[58:59], v[2:3], v[10:11]
	v_add_f64 v[60:61], v[58:59], v[12:13]
	v_add_f64 v[46:47], v[16:17], v[44:45]
	;; [unrolled: 1-line block ×3, first 2 shown]
	v_ldexp_f64 v[48:49], v[46:47], -2
	v_add_f64 v[16:17], v[46:47], -v[16:17]
	v_add_f64 v[46:47], v[62:63], -v[60:61]
	;; [unrolled: 1-line block ×5, first 2 shown]
	v_add_f64 v[42:43], v[42:43], v[46:47]
	v_add_f64 v[46:47], v[60:61], -v[58:59]
	v_add_f64 v[12:13], v[12:13], -v[46:47]
	;; [unrolled: 1-line block ×5, first 2 shown]
	v_add_f64 v[12:13], v[12:13], v[46:47]
	v_fract_f64_e32 v[50:51], v[48:49]
	v_add_f64 v[44:45], v[16:17], v[62:63]
	v_add_f64 v[12:13], v[12:13], v[42:43]
	v_fma_f64 v[10:11], v[2:3], v[10:11], -v[58:59]
	v_add_f64 v[16:17], v[44:45], -v[16:17]
	v_add_f64 v[10:11], v[10:11], v[12:13]
	v_ldexp_f64 v[12:13], v[50:51], 2
	v_cmp_neq_f64_e64 vcc, |v[48:49]|, s[50:51]
	v_add_f64 v[16:17], v[62:63], -v[16:17]
	v_add_f64 v[10:11], v[16:17], v[10:11]
	v_cndmask_b32_e32 v13, 0, v13, vcc
	v_cndmask_b32_e32 v12, 0, v12, vcc
	v_add_f64 v[16:17], v[44:45], v[12:13]
	v_cmp_gt_f64_e32 vcc, 0, v[16:17]
	s_nop 1
	v_cndmask_b32_e32 v91, 0, v55, vcc
	v_add_f64 v[12:13], v[12:13], v[90:91]
	v_add_f64 v[16:17], v[44:45], v[12:13]
	v_cvt_i32_f64_e32 v15, v[16:17]
	v_cvt_f64_i32_e32 v[16:17], v15
	v_add_f64 v[12:13], v[12:13], -v[16:17]
	v_add_f64 v[16:17], v[44:45], v[12:13]
	v_add_f64 v[12:13], v[16:17], -v[12:13]
	v_cmp_le_f64_e32 vcc, 0.5, v[16:17]
	v_add_f64 v[12:13], v[44:45], -v[12:13]
	v_add_f64 v[10:11], v[10:11], v[12:13]
	v_cndmask_b32_e32 v91, 0, v56, vcc
	v_add_f64 v[12:13], v[16:17], -v[90:91]
	v_add_f64 v[16:17], v[12:13], v[10:11]
	v_add_f64 v[12:13], v[16:17], -v[12:13]
	v_add_f64 v[10:11], v[10:11], -v[12:13]
	v_mul_f64 v[12:13], v[16:17], s[52:53]
	v_fma_f64 v[42:43], v[16:17], s[52:53], -v[12:13]
	v_fmac_f64_e32 v[42:43], s[54:55], v[16:17]
	v_fmac_f64_e32 v[42:43], s[52:53], v[10:11]
	v_add_f64 v[10:11], v[12:13], v[42:43]
	v_add_f64 v[12:13], v[10:11], -v[12:13]
	v_addc_co_u32_e64 v15, s[2:3], 0, v15, vcc
	v_add_f64 v[12:13], v[42:43], -v[12:13]
.LBB0_83:                               ;   in Loop: Header=BB0_34 Depth=1
	s_andn2_saveexec_b64 s[2:3], s[16:17]
	s_cbranch_execz .LBB0_85
; %bb.84:                               ;   in Loop: Header=BB0_34 Depth=1
	v_mul_f64 v[10:11], |v[0:1]|, s[56:57]
	v_rndne_f64_e32 v[16:17], v[10:11]
	s_mov_b32 s58, s52
	v_fma_f64 v[10:11], v[16:17], s[58:59], |v[0:1]|
	v_mul_f64 v[42:43], v[16:17], s[60:61]
	v_add_f64 v[46:47], v[10:11], v[42:43]
	v_fma_f64 v[12:13], s[60:61], v[16:17], v[10:11]
	s_mov_b32 s16, s60
	s_mov_b32 s17, s55
	v_add_f64 v[10:11], v[10:11], -v[46:47]
	v_fma_f64 v[44:45], s[16:17], v[16:17], v[42:43]
	v_add_f64 v[10:11], v[10:11], v[42:43]
	v_add_f64 v[42:43], v[46:47], -v[12:13]
	v_add_f64 v[10:11], v[42:43], v[10:11]
	v_add_f64 v[42:43], v[10:11], -v[44:45]
	v_fmac_f64_e32 v[42:43], s[62:63], v[16:17]
	v_add_f64 v[10:11], v[12:13], v[42:43]
	v_add_f64 v[12:13], v[10:11], -v[12:13]
	v_add_f64 v[12:13], v[42:43], -v[12:13]
	v_cvt_i32_f64_e32 v15, v[16:17]
.LBB0_85:                               ;   in Loop: Header=BB0_34 Depth=1
	s_or_b64 exec, exec, s[2:3]
	v_mul_f64 v[16:17], v[10:11], v[10:11]
	v_mov_b64_e32 v[48:49], v[24:25]
	v_mul_f64 v[42:43], v[16:17], 0.5
	v_fmac_f64_e32 v[48:49], s[66:67], v[16:17]
	v_mov_b64_e32 v[50:51], v[26:27]
	v_add_f64 v[44:45], -v[42:43], 1.0
	v_fmac_f64_e32 v[50:51], v[16:17], v[48:49]
	v_mov_b64_e32 v[48:49], v[28:29]
	v_add_f64 v[46:47], -v[44:45], 1.0
	v_fmac_f64_e32 v[48:49], v[16:17], v[50:51]
	v_mov_b64_e32 v[50:51], v[30:31]
	v_add_f64 v[42:43], v[46:47], -v[42:43]
	v_fmac_f64_e32 v[50:51], v[16:17], v[48:49]
	v_mov_b64_e32 v[48:49], v[32:33]
	v_mul_f64 v[46:47], v[16:17], v[16:17]
	v_fmac_f64_e32 v[48:49], v[16:17], v[50:51]
	v_fma_f64 v[42:43], v[10:11], -v[12:13], v[42:43]
	v_fmac_f64_e32 v[42:43], v[46:47], v[48:49]
	v_add_f64 v[42:43], v[44:45], v[42:43]
	v_mov_b64_e32 v[44:45], v[34:35]
	v_fmac_f64_e32 v[44:45], s[80:81], v[16:17]
	v_mov_b64_e32 v[46:47], v[36:37]
	v_fmac_f64_e32 v[46:47], v[16:17], v[44:45]
	v_mov_b64_e32 v[44:45], v[38:39]
	v_fmac_f64_e32 v[44:45], v[16:17], v[46:47]
	v_mov_b64_e32 v[46:47], v[40:41]
	v_fmac_f64_e32 v[46:47], v[16:17], v[44:45]
	v_mul_f64 v[44:45], v[10:11], -v[16:17]
	v_mul_f64 v[48:49], v[12:13], 0.5
	v_fmac_f64_e32 v[48:49], v[44:45], v[46:47]
	v_fma_f64 v[12:13], v[16:17], v[48:49], -v[12:13]
	v_fmac_f64_e32 v[12:13], s[76:77], v[44:45]
	v_add_f64 v[10:11], v[10:11], -v[12:13]
	v_and_b32_e32 v12, 1, v15
	v_xor_b32_e32 v11, 0x80000000, v11
	v_cmp_eq_u32_e32 vcc, 0, v12
	v_lshlrev_b32_e32 v12, 30, v15
                                        ; implicit-def: $vgpr15
	s_nop 0
	v_cndmask_b32_e32 v11, v11, v43, vcc
	v_cndmask_b32_e32 v10, v10, v42, vcc
	v_bitop3_b32 v11, v11, v12, s33 bitop3:0x78
	v_cmp_class_f64_e64 vcc, v[0:1], s96
                                        ; implicit-def: $vgpr12_vgpr13
	s_nop 1
	v_cndmask_b32_e32 v10, 0, v10, vcc
	v_cndmask_b32_e32 v11, v57, v11, vcc
	scratch_store_dwordx2 off, v[10:11], off offset:16
                                        ; implicit-def: $vgpr10_vgpr11
	s_and_saveexec_b64 s[2:3], s[4:5]
	s_xor_b64 s[16:17], exec, s[2:3]
	s_cbranch_execz .LBB0_87
; %bb.86:                               ;   in Loop: Header=BB0_34 Depth=1
	v_cmp_ge_f64_e64 s[2:3], |v[0:1]|, s[48:49]
	s_nop 1
	v_cndmask_b32_e64 v9, v14, v9, s[2:3]
	v_cndmask_b32_e64 v8, v0, v8, s[2:3]
	v_mul_f64 v[12:13], v[6:7], v[8:9]
	v_mul_f64 v[10:11], v[4:5], v[8:9]
	v_fma_f64 v[6:7], v[6:7], v[8:9], -v[12:13]
	v_add_f64 v[14:15], v[10:11], v[6:7]
	v_add_f64 v[46:47], v[14:15], -v[10:11]
	v_add_f64 v[6:7], v[6:7], -v[46:47]
	;; [unrolled: 1-line block ×4, first 2 shown]
	v_fma_f64 v[4:5], v[4:5], v[8:9], -v[10:11]
	v_mul_f64 v[10:11], v[2:3], v[8:9]
	v_add_f64 v[6:7], v[6:7], v[46:47]
	v_add_f64 v[46:47], v[10:11], v[4:5]
	;; [unrolled: 1-line block ×4, first 2 shown]
	v_ldexp_f64 v[42:43], v[16:17], -2
	v_add_f64 v[12:13], v[16:17], -v[12:13]
	v_add_f64 v[16:17], v[48:49], -v[46:47]
	v_add_f64 v[6:7], v[6:7], -v[16:17]
	v_add_f64 v[16:17], v[48:49], -v[16:17]
	v_add_f64 v[16:17], v[46:47], -v[16:17]
	v_add_f64 v[6:7], v[6:7], v[16:17]
	v_add_f64 v[16:17], v[46:47], -v[10:11]
	v_add_f64 v[4:5], v[4:5], -v[16:17]
	;; [unrolled: 1-line block ×4, first 2 shown]
	v_add_f64 v[4:5], v[4:5], v[16:17]
	v_fract_f64_e32 v[44:45], v[42:43]
	v_add_f64 v[4:5], v[4:5], v[6:7]
	v_fma_f64 v[2:3], v[2:3], v[8:9], -v[10:11]
	v_add_f64 v[12:13], v[14:15], -v[12:13]
	v_add_f64 v[2:3], v[2:3], v[4:5]
	v_ldexp_f64 v[4:5], v[44:45], 2
	v_cmp_neq_f64_e64 s[2:3], |v[42:43]|, s[50:51]
	v_add_f64 v[14:15], v[12:13], v[48:49]
	v_add_f64 v[12:13], v[14:15], -v[12:13]
	v_cndmask_b32_e64 v5, 0, v5, s[2:3]
	v_cndmask_b32_e64 v4, 0, v4, s[2:3]
	v_add_f64 v[6:7], v[14:15], v[4:5]
	v_cmp_gt_f64_e64 s[2:3], 0, v[6:7]
	v_add_f64 v[12:13], v[48:49], -v[12:13]
	v_add_f64 v[2:3], v[12:13], v[2:3]
	v_cndmask_b32_e64 v91, 0, v55, s[2:3]
	v_add_f64 v[4:5], v[4:5], v[90:91]
	v_add_f64 v[6:7], v[14:15], v[4:5]
	v_cvt_i32_f64_e32 v8, v[6:7]
	v_cvt_f64_i32_e32 v[6:7], v8
	v_add_f64 v[4:5], v[4:5], -v[6:7]
	v_add_f64 v[6:7], v[14:15], v[4:5]
	v_add_f64 v[4:5], v[6:7], -v[4:5]
	v_cmp_le_f64_e64 s[2:3], 0.5, v[6:7]
	v_add_f64 v[4:5], v[14:15], -v[4:5]
	v_add_f64 v[2:3], v[2:3], v[4:5]
	v_cndmask_b32_e64 v91, 0, v56, s[2:3]
	v_add_f64 v[4:5], v[6:7], -v[90:91]
	v_add_f64 v[6:7], v[4:5], v[2:3]
	v_add_f64 v[4:5], v[6:7], -v[4:5]
	v_add_f64 v[2:3], v[2:3], -v[4:5]
	v_mul_f64 v[4:5], v[6:7], s[52:53]
	v_addc_co_u32_e64 v15, s[4:5], 0, v8, s[2:3]
	v_fma_f64 v[8:9], v[6:7], s[52:53], -v[4:5]
	v_fmac_f64_e32 v[8:9], s[54:55], v[6:7]
	v_fmac_f64_e32 v[8:9], s[52:53], v[2:3]
	v_add_f64 v[10:11], v[4:5], v[8:9]
	v_add_f64 v[2:3], v[10:11], -v[4:5]
	v_add_f64 v[12:13], v[8:9], -v[2:3]
.LBB0_87:                               ;   in Loop: Header=BB0_34 Depth=1
	s_andn2_saveexec_b64 s[2:3], s[16:17]
	s_cbranch_execz .LBB0_89
; %bb.88:                               ;   in Loop: Header=BB0_34 Depth=1
	v_mul_f64 v[2:3], |v[0:1]|, s[56:57]
	v_rndne_f64_e32 v[2:3], v[2:3]
	s_mov_b32 s58, s52
	v_fma_f64 v[4:5], v[2:3], s[58:59], |v[0:1]|
	v_mul_f64 v[8:9], v[2:3], s[60:61]
	v_add_f64 v[12:13], v[4:5], v[8:9]
	v_fma_f64 v[6:7], s[60:61], v[2:3], v[4:5]
	s_mov_b32 s4, s60
	s_mov_b32 s5, s55
	v_add_f64 v[4:5], v[4:5], -v[12:13]
	v_fma_f64 v[10:11], s[4:5], v[2:3], v[8:9]
	v_add_f64 v[4:5], v[4:5], v[8:9]
	v_add_f64 v[8:9], v[12:13], -v[6:7]
	v_add_f64 v[4:5], v[8:9], v[4:5]
	v_add_f64 v[4:5], v[4:5], -v[10:11]
	v_fmac_f64_e32 v[4:5], s[62:63], v[2:3]
	v_add_f64 v[10:11], v[6:7], v[4:5]
	v_add_f64 v[6:7], v[10:11], -v[6:7]
	v_add_f64 v[12:13], v[4:5], -v[6:7]
	v_cvt_i32_f64_e32 v15, v[2:3]
.LBB0_89:                               ;   in Loop: Header=BB0_34 Depth=1
	s_or_b64 exec, exec, s[2:3]
	v_mul_f64 v[2:3], v[10:11], v[10:11]
	v_mov_b64_e32 v[16:17], v[24:25]
	v_mul_f64 v[4:5], v[2:3], 0.5
	v_fmac_f64_e32 v[16:17], s[66:67], v[2:3]
	v_mov_b64_e32 v[42:43], v[26:27]
	v_add_f64 v[6:7], -v[4:5], 1.0
	v_fmac_f64_e32 v[42:43], v[2:3], v[16:17]
	v_mov_b64_e32 v[16:17], v[28:29]
	v_add_f64 v[8:9], -v[6:7], 1.0
	v_fmac_f64_e32 v[16:17], v[2:3], v[42:43]
	v_mov_b64_e32 v[42:43], v[30:31]
	v_add_f64 v[4:5], v[8:9], -v[4:5]
	v_fmac_f64_e32 v[42:43], v[2:3], v[16:17]
	v_mov_b64_e32 v[16:17], v[32:33]
	v_mul_f64 v[8:9], v[2:3], v[2:3]
	v_fmac_f64_e32 v[16:17], v[2:3], v[42:43]
	v_fma_f64 v[4:5], v[10:11], -v[12:13], v[4:5]
	v_fmac_f64_e32 v[4:5], v[8:9], v[16:17]
	v_add_f64 v[4:5], v[6:7], v[4:5]
	v_mov_b64_e32 v[6:7], v[34:35]
	v_fmac_f64_e32 v[6:7], s[80:81], v[2:3]
	v_mov_b64_e32 v[8:9], v[36:37]
	v_fmac_f64_e32 v[8:9], v[2:3], v[6:7]
	;; [unrolled: 2-line block ×4, first 2 shown]
	v_mul_f64 v[6:7], v[10:11], -v[2:3]
	v_mul_f64 v[16:17], v[12:13], 0.5
	v_fmac_f64_e32 v[16:17], v[6:7], v[8:9]
	v_fma_f64 v[2:3], v[2:3], v[16:17], -v[12:13]
	v_fmac_f64_e32 v[2:3], s[76:77], v[6:7]
	v_and_b32_e32 v0, 1, v15
	v_add_f64 v[2:3], v[10:11], -v[2:3]
	v_cmp_eq_u32_e64 s[2:3], 0, v0
	s_nop 1
	v_cndmask_b32_e64 v0, v4, v2, s[2:3]
	v_cndmask_b32_e64 v2, v5, v3, s[2:3]
	v_lshlrev_b32_e32 v3, 30, v15
	v_xor_b32_e32 v1, v3, v1
	v_bitop3_b32 v1, v2, v1, s33 bitop3:0x78
	v_cndmask_b32_e32 v0, 0, v0, vcc
	v_cndmask_b32_e64 v1, v67, -v1, vcc
	scratch_store_dwordx2 off, v[0:1], off offset:24
	global_load_dwordx2 v[0:1], v[100:101], off offset:16
	s_mov_b32 s2, 0
	s_mov_b32 s3, 0x40080000
                                        ; implicit-def: $vgpr15
	s_waitcnt vmcnt(0)
	v_mul_f64 v[2:3], v[20:21], v[0:1]
	v_mul_f64 v[4:5], v[2:3], s[2:3]
	v_fma_f64 v[2:3], -v[2:3], v[2:3], s[2:3]
	v_div_scale_f64 v[6:7], s[2:3], v[2:3], v[2:3], v[4:5]
	v_rcp_f64_e32 v[8:9], v[6:7]
	s_nop 0
	v_fma_f64 v[10:11], -v[6:7], v[8:9], 1.0
	v_fmac_f64_e32 v[8:9], v[8:9], v[10:11]
	v_fma_f64 v[10:11], -v[6:7], v[8:9], 1.0
	v_fmac_f64_e32 v[8:9], v[8:9], v[10:11]
	v_div_scale_f64 v[10:11], vcc, v[4:5], v[2:3], v[4:5]
	v_mul_f64 v[12:13], v[10:11], v[8:9]
	v_fma_f64 v[6:7], -v[6:7], v[12:13], v[10:11]
	s_nop 1
	v_div_fmas_f64 v[6:7], v[6:7], v[8:9], v[12:13]
	v_div_fixup_f64 v[2:3], v[6:7], v[2:3], v[4:5]
	v_and_b32_e32 v5, 0x7fffffff, v3
	v_mov_b32_e32 v4, v2
	v_div_scale_f64 v[6:7], s[4:5], v[4:5], v[4:5], 1.0
	v_rcp_f64_e32 v[8:9], v[6:7]
	v_cmp_gt_f64_e64 s[2:3], |v[2:3]|, 1.0
	s_mov_b32 s4, 0xb5e68a13
	s_mov_b32 s5, 0x3eeba404
	v_fma_f64 v[10:11], -v[6:7], v[8:9], 1.0
	v_fmac_f64_e32 v[8:9], v[8:9], v[10:11]
	v_fma_f64 v[10:11], -v[6:7], v[8:9], 1.0
	v_fmac_f64_e32 v[8:9], v[8:9], v[10:11]
	v_div_scale_f64 v[10:11], vcc, 1.0, v[4:5], 1.0
	v_mul_f64 v[12:13], v[10:11], v[8:9]
	v_fma_f64 v[6:7], -v[6:7], v[12:13], v[10:11]
	scratch_load_dwordx2 v[10:11], off, off offset:72 ; 8-byte Folded Reload
	s_nop 0
	v_div_fmas_f64 v[6:7], v[6:7], v[8:9], v[12:13]
	scratch_load_dwordx2 v[8:9], off, off offset:64 ; 8-byte Folded Reload
	scratch_load_dwordx2 v[12:13], off, off offset:192 ; 8-byte Folded Reload
	v_div_fixup_f64 v[6:7], v[6:7], |v[2:3]|, 1.0
	v_cndmask_b32_e64 v5, v5, v7, s[2:3]
	v_cndmask_b32_e64 v4, v2, v6, s[2:3]
	v_mul_f64 v[6:7], v[4:5], v[4:5]
	s_waitcnt vmcnt(1)
	v_fmac_f64_e32 v[8:9], s[4:5], v[6:7]
	v_fmac_f64_e32 v[10:11], v[6:7], v[8:9]
	scratch_load_dwordx2 v[8:9], off, off offset:80 ; 8-byte Folded Reload
	s_mov_b32 s4, 0x336a0500
	s_mov_b32 s5, 0x3fedd9ad
	s_waitcnt vmcnt(0)
	v_fmac_f64_e32 v[8:9], v[6:7], v[10:11]
	scratch_load_dwordx2 v[10:11], off, off offset:88 ; 8-byte Folded Reload
	s_waitcnt vmcnt(0)
	v_fmac_f64_e32 v[10:11], v[6:7], v[8:9]
	scratch_load_dwordx2 v[8:9], off, off offset:96 ; 8-byte Folded Reload
	;; [unrolled: 3-line block ×13, first 2 shown]
	s_waitcnt vmcnt(0)
	v_fmac_f64_e32 v[10:11], v[6:7], v[8:9]
	v_fmac_f64_e32 v[12:13], v[6:7], v[10:11]
	v_mov_b64_e32 v[8:9], v[78:79]
	v_fmac_f64_e32 v[8:9], v[6:7], v[12:13]
	v_mov_b64_e32 v[10:11], v[80:81]
	v_fmac_f64_e32 v[10:11], v[6:7], v[8:9]
	v_mul_f64 v[6:7], v[6:7], v[10:11]
	v_fmac_f64_e32 v[4:5], v[4:5], v[6:7]
	scratch_load_dwordx2 v[6:7], off, off offset:200 ; 8-byte Folded Reload
                                        ; implicit-def: $vgpr10_vgpr11
                                        ; implicit-def: $vgpr12_vgpr13
	s_waitcnt vmcnt(0)
	v_fma_f64 v[6:7], s[4:5], v[6:7], -v[4:5]
	v_cndmask_b32_e64 v2, v4, v6, s[2:3]
	v_cndmask_b32_e64 v4, v5, v7, s[2:3]
	s_brev_b32 s2, -2
	v_bfi_b32 v3, s2, v4, v3
	v_fma_f64 v[0:1], v[20:21], v[0:1], -v[2:3]
	v_add_f64 v[0:1], v[0:1], v[0:1]
	v_cmp_nlt_f64_e64 s[4:5], |v[0:1]|, s[46:47]
	v_trig_preop_f64 v[6:7], |v[0:1]|, 0
	v_trig_preop_f64 v[4:5], |v[0:1]|, 1
	v_ldexp_f64 v[8:9], |v[0:1]|, s19
	v_trig_preop_f64 v[2:3], |v[0:1]|, 2
	v_and_b32_e32 v14, 0x7fffffff, v1
	s_and_saveexec_b64 s[2:3], s[4:5]
	s_xor_b64 s[16:17], exec, s[2:3]
	s_cbranch_execz .LBB0_91
; %bb.90:                               ;   in Loop: Header=BB0_34 Depth=1
	v_cmp_ge_f64_e64 vcc, |v[0:1]|, s[48:49]
	s_nop 1
	v_cndmask_b32_e32 v11, v14, v9, vcc
	v_cndmask_b32_e32 v10, v0, v8, vcc
	v_mul_f64 v[16:17], v[6:7], v[10:11]
	v_mul_f64 v[12:13], v[4:5], v[10:11]
	v_fma_f64 v[42:43], v[6:7], v[10:11], -v[16:17]
	v_add_f64 v[44:45], v[12:13], v[42:43]
	v_add_f64 v[58:59], v[44:45], -v[12:13]
	v_add_f64 v[42:43], v[42:43], -v[58:59]
	;; [unrolled: 1-line block ×4, first 2 shown]
	v_add_f64 v[42:43], v[42:43], v[58:59]
	v_fma_f64 v[12:13], v[4:5], v[10:11], -v[12:13]
	v_mul_f64 v[58:59], v[2:3], v[10:11]
	v_add_f64 v[60:61], v[58:59], v[12:13]
	v_add_f64 v[46:47], v[16:17], v[44:45]
	;; [unrolled: 1-line block ×3, first 2 shown]
	v_ldexp_f64 v[48:49], v[46:47], -2
	v_add_f64 v[16:17], v[46:47], -v[16:17]
	v_add_f64 v[46:47], v[62:63], -v[60:61]
	v_add_f64 v[42:43], v[42:43], -v[46:47]
	v_add_f64 v[46:47], v[62:63], -v[46:47]
	v_add_f64 v[46:47], v[60:61], -v[46:47]
	v_add_f64 v[42:43], v[42:43], v[46:47]
	v_add_f64 v[46:47], v[60:61], -v[58:59]
	v_add_f64 v[12:13], v[12:13], -v[46:47]
	;; [unrolled: 1-line block ×5, first 2 shown]
	v_add_f64 v[12:13], v[12:13], v[46:47]
	v_fract_f64_e32 v[50:51], v[48:49]
	v_add_f64 v[44:45], v[16:17], v[62:63]
	v_add_f64 v[12:13], v[12:13], v[42:43]
	v_fma_f64 v[10:11], v[2:3], v[10:11], -v[58:59]
	v_add_f64 v[16:17], v[44:45], -v[16:17]
	v_add_f64 v[10:11], v[10:11], v[12:13]
	v_ldexp_f64 v[12:13], v[50:51], 2
	v_cmp_neq_f64_e64 vcc, |v[48:49]|, s[50:51]
	v_add_f64 v[16:17], v[62:63], -v[16:17]
	v_add_f64 v[10:11], v[16:17], v[10:11]
	v_cndmask_b32_e32 v13, 0, v13, vcc
	v_cndmask_b32_e32 v12, 0, v12, vcc
	v_add_f64 v[16:17], v[44:45], v[12:13]
	v_cmp_gt_f64_e32 vcc, 0, v[16:17]
	s_nop 1
	v_cndmask_b32_e32 v91, 0, v55, vcc
	v_add_f64 v[12:13], v[12:13], v[90:91]
	v_add_f64 v[16:17], v[44:45], v[12:13]
	v_cvt_i32_f64_e32 v15, v[16:17]
	v_cvt_f64_i32_e32 v[16:17], v15
	v_add_f64 v[12:13], v[12:13], -v[16:17]
	v_add_f64 v[16:17], v[44:45], v[12:13]
	v_add_f64 v[12:13], v[16:17], -v[12:13]
	v_cmp_le_f64_e32 vcc, 0.5, v[16:17]
	v_add_f64 v[12:13], v[44:45], -v[12:13]
	v_add_f64 v[10:11], v[10:11], v[12:13]
	v_cndmask_b32_e32 v91, 0, v56, vcc
	v_add_f64 v[12:13], v[16:17], -v[90:91]
	v_add_f64 v[16:17], v[12:13], v[10:11]
	v_add_f64 v[12:13], v[16:17], -v[12:13]
	v_add_f64 v[10:11], v[10:11], -v[12:13]
	v_mul_f64 v[12:13], v[16:17], s[52:53]
	v_fma_f64 v[42:43], v[16:17], s[52:53], -v[12:13]
	v_fmac_f64_e32 v[42:43], s[54:55], v[16:17]
	v_fmac_f64_e32 v[42:43], s[52:53], v[10:11]
	v_add_f64 v[10:11], v[12:13], v[42:43]
	v_add_f64 v[12:13], v[10:11], -v[12:13]
	v_addc_co_u32_e64 v15, s[2:3], 0, v15, vcc
	v_add_f64 v[12:13], v[42:43], -v[12:13]
.LBB0_91:                               ;   in Loop: Header=BB0_34 Depth=1
	s_andn2_saveexec_b64 s[2:3], s[16:17]
	s_cbranch_execz .LBB0_93
; %bb.92:                               ;   in Loop: Header=BB0_34 Depth=1
	v_mul_f64 v[10:11], |v[0:1]|, s[56:57]
	v_rndne_f64_e32 v[16:17], v[10:11]
	s_mov_b32 s58, s52
	v_fma_f64 v[10:11], v[16:17], s[58:59], |v[0:1]|
	v_mul_f64 v[42:43], v[16:17], s[60:61]
	v_add_f64 v[46:47], v[10:11], v[42:43]
	v_fma_f64 v[12:13], s[60:61], v[16:17], v[10:11]
	s_mov_b32 s16, s60
	s_mov_b32 s17, s55
	v_add_f64 v[10:11], v[10:11], -v[46:47]
	v_fma_f64 v[44:45], s[16:17], v[16:17], v[42:43]
	v_add_f64 v[10:11], v[10:11], v[42:43]
	v_add_f64 v[42:43], v[46:47], -v[12:13]
	v_add_f64 v[10:11], v[42:43], v[10:11]
	v_add_f64 v[42:43], v[10:11], -v[44:45]
	v_fmac_f64_e32 v[42:43], s[62:63], v[16:17]
	v_add_f64 v[10:11], v[12:13], v[42:43]
	v_add_f64 v[12:13], v[10:11], -v[12:13]
	v_add_f64 v[12:13], v[42:43], -v[12:13]
	v_cvt_i32_f64_e32 v15, v[16:17]
.LBB0_93:                               ;   in Loop: Header=BB0_34 Depth=1
	s_or_b64 exec, exec, s[2:3]
	v_mul_f64 v[16:17], v[10:11], v[10:11]
	v_mov_b64_e32 v[48:49], v[24:25]
	v_mul_f64 v[42:43], v[16:17], 0.5
	v_fmac_f64_e32 v[48:49], s[66:67], v[16:17]
	v_mov_b64_e32 v[50:51], v[26:27]
	v_add_f64 v[44:45], -v[42:43], 1.0
	v_fmac_f64_e32 v[50:51], v[16:17], v[48:49]
	v_mov_b64_e32 v[48:49], v[28:29]
	v_add_f64 v[46:47], -v[44:45], 1.0
	v_fmac_f64_e32 v[48:49], v[16:17], v[50:51]
	v_mov_b64_e32 v[50:51], v[30:31]
	v_add_f64 v[42:43], v[46:47], -v[42:43]
	v_fmac_f64_e32 v[50:51], v[16:17], v[48:49]
	v_mov_b64_e32 v[48:49], v[32:33]
	v_mul_f64 v[46:47], v[16:17], v[16:17]
	v_fmac_f64_e32 v[48:49], v[16:17], v[50:51]
	v_fma_f64 v[42:43], v[10:11], -v[12:13], v[42:43]
	v_fmac_f64_e32 v[42:43], v[46:47], v[48:49]
	v_add_f64 v[42:43], v[44:45], v[42:43]
	v_mov_b64_e32 v[44:45], v[34:35]
	v_fmac_f64_e32 v[44:45], s[80:81], v[16:17]
	v_mov_b64_e32 v[46:47], v[36:37]
	v_fmac_f64_e32 v[46:47], v[16:17], v[44:45]
	;; [unrolled: 2-line block ×4, first 2 shown]
	v_mul_f64 v[44:45], v[10:11], -v[16:17]
	v_mul_f64 v[48:49], v[12:13], 0.5
	v_fmac_f64_e32 v[48:49], v[44:45], v[46:47]
	v_fma_f64 v[12:13], v[16:17], v[48:49], -v[12:13]
	v_fmac_f64_e32 v[12:13], s[76:77], v[44:45]
	v_add_f64 v[10:11], v[10:11], -v[12:13]
	v_and_b32_e32 v12, 1, v15
	v_xor_b32_e32 v11, 0x80000000, v11
	v_cmp_eq_u32_e32 vcc, 0, v12
	v_lshlrev_b32_e32 v12, 30, v15
                                        ; implicit-def: $vgpr15
	s_nop 0
	v_cndmask_b32_e32 v11, v11, v43, vcc
	v_cndmask_b32_e32 v10, v10, v42, vcc
	v_bitop3_b32 v11, v11, v12, s33 bitop3:0x78
	v_cmp_class_f64_e64 vcc, v[0:1], s96
                                        ; implicit-def: $vgpr12_vgpr13
	s_nop 1
	v_cndmask_b32_e32 v10, 0, v10, vcc
	v_cndmask_b32_e32 v11, v57, v11, vcc
	scratch_store_dwordx2 off, v[10:11], off offset:32
                                        ; implicit-def: $vgpr10_vgpr11
	s_and_saveexec_b64 s[2:3], s[4:5]
	s_xor_b64 s[16:17], exec, s[2:3]
	s_cbranch_execz .LBB0_95
; %bb.94:                               ;   in Loop: Header=BB0_34 Depth=1
	v_cmp_ge_f64_e64 s[2:3], |v[0:1]|, s[48:49]
	s_nop 1
	v_cndmask_b32_e64 v9, v14, v9, s[2:3]
	v_cndmask_b32_e64 v8, v0, v8, s[2:3]
	v_mul_f64 v[12:13], v[6:7], v[8:9]
	v_mul_f64 v[10:11], v[4:5], v[8:9]
	v_fma_f64 v[6:7], v[6:7], v[8:9], -v[12:13]
	v_add_f64 v[14:15], v[10:11], v[6:7]
	v_add_f64 v[46:47], v[14:15], -v[10:11]
	v_add_f64 v[6:7], v[6:7], -v[46:47]
	v_add_f64 v[46:47], v[14:15], -v[46:47]
	v_add_f64 v[46:47], v[10:11], -v[46:47]
	v_fma_f64 v[4:5], v[4:5], v[8:9], -v[10:11]
	v_mul_f64 v[10:11], v[2:3], v[8:9]
	v_add_f64 v[6:7], v[6:7], v[46:47]
	v_add_f64 v[46:47], v[10:11], v[4:5]
	;; [unrolled: 1-line block ×4, first 2 shown]
	v_ldexp_f64 v[42:43], v[16:17], -2
	v_add_f64 v[12:13], v[16:17], -v[12:13]
	v_add_f64 v[16:17], v[48:49], -v[46:47]
	;; [unrolled: 1-line block ×5, first 2 shown]
	v_add_f64 v[6:7], v[6:7], v[16:17]
	v_add_f64 v[16:17], v[46:47], -v[10:11]
	v_add_f64 v[4:5], v[4:5], -v[16:17]
	;; [unrolled: 1-line block ×4, first 2 shown]
	v_add_f64 v[4:5], v[4:5], v[16:17]
	v_fract_f64_e32 v[44:45], v[42:43]
	v_add_f64 v[4:5], v[4:5], v[6:7]
	v_fma_f64 v[2:3], v[2:3], v[8:9], -v[10:11]
	v_add_f64 v[12:13], v[14:15], -v[12:13]
	v_add_f64 v[2:3], v[2:3], v[4:5]
	v_ldexp_f64 v[4:5], v[44:45], 2
	v_cmp_neq_f64_e64 s[2:3], |v[42:43]|, s[50:51]
	v_add_f64 v[14:15], v[12:13], v[48:49]
	v_add_f64 v[12:13], v[14:15], -v[12:13]
	v_cndmask_b32_e64 v5, 0, v5, s[2:3]
	v_cndmask_b32_e64 v4, 0, v4, s[2:3]
	v_add_f64 v[6:7], v[14:15], v[4:5]
	v_cmp_gt_f64_e64 s[2:3], 0, v[6:7]
	v_add_f64 v[12:13], v[48:49], -v[12:13]
	v_add_f64 v[2:3], v[12:13], v[2:3]
	v_cndmask_b32_e64 v91, 0, v55, s[2:3]
	v_add_f64 v[4:5], v[4:5], v[90:91]
	v_add_f64 v[6:7], v[14:15], v[4:5]
	v_cvt_i32_f64_e32 v8, v[6:7]
	v_cvt_f64_i32_e32 v[6:7], v8
	v_add_f64 v[4:5], v[4:5], -v[6:7]
	v_add_f64 v[6:7], v[14:15], v[4:5]
	v_add_f64 v[4:5], v[6:7], -v[4:5]
	v_cmp_le_f64_e64 s[2:3], 0.5, v[6:7]
	v_add_f64 v[4:5], v[14:15], -v[4:5]
	v_add_f64 v[2:3], v[2:3], v[4:5]
	v_cndmask_b32_e64 v91, 0, v56, s[2:3]
	v_add_f64 v[4:5], v[6:7], -v[90:91]
	v_add_f64 v[6:7], v[4:5], v[2:3]
	v_add_f64 v[4:5], v[6:7], -v[4:5]
	v_add_f64 v[2:3], v[2:3], -v[4:5]
	v_mul_f64 v[4:5], v[6:7], s[52:53]
	v_addc_co_u32_e64 v15, s[4:5], 0, v8, s[2:3]
	v_fma_f64 v[8:9], v[6:7], s[52:53], -v[4:5]
	v_fmac_f64_e32 v[8:9], s[54:55], v[6:7]
	v_fmac_f64_e32 v[8:9], s[52:53], v[2:3]
	v_add_f64 v[10:11], v[4:5], v[8:9]
	v_add_f64 v[2:3], v[10:11], -v[4:5]
	v_add_f64 v[12:13], v[8:9], -v[2:3]
.LBB0_95:                               ;   in Loop: Header=BB0_34 Depth=1
	s_andn2_saveexec_b64 s[2:3], s[16:17]
	s_cbranch_execz .LBB0_97
; %bb.96:                               ;   in Loop: Header=BB0_34 Depth=1
	v_mul_f64 v[2:3], |v[0:1]|, s[56:57]
	v_rndne_f64_e32 v[2:3], v[2:3]
	s_mov_b32 s58, s52
	v_fma_f64 v[4:5], v[2:3], s[58:59], |v[0:1]|
	v_mul_f64 v[8:9], v[2:3], s[60:61]
	v_add_f64 v[12:13], v[4:5], v[8:9]
	v_fma_f64 v[6:7], s[60:61], v[2:3], v[4:5]
	s_mov_b32 s4, s60
	s_mov_b32 s5, s55
	v_add_f64 v[4:5], v[4:5], -v[12:13]
	v_fma_f64 v[10:11], s[4:5], v[2:3], v[8:9]
	v_add_f64 v[4:5], v[4:5], v[8:9]
	v_add_f64 v[8:9], v[12:13], -v[6:7]
	v_add_f64 v[4:5], v[8:9], v[4:5]
	v_add_f64 v[4:5], v[4:5], -v[10:11]
	v_fmac_f64_e32 v[4:5], s[62:63], v[2:3]
	v_add_f64 v[10:11], v[6:7], v[4:5]
	v_add_f64 v[6:7], v[10:11], -v[6:7]
	v_add_f64 v[12:13], v[4:5], -v[6:7]
	v_cvt_i32_f64_e32 v15, v[2:3]
.LBB0_97:                               ;   in Loop: Header=BB0_34 Depth=1
	s_or_b64 exec, exec, s[2:3]
	v_mul_f64 v[2:3], v[10:11], v[10:11]
	v_mov_b64_e32 v[16:17], v[24:25]
	v_mul_f64 v[4:5], v[2:3], 0.5
	v_fmac_f64_e32 v[16:17], s[66:67], v[2:3]
	v_mov_b64_e32 v[42:43], v[26:27]
	v_add_f64 v[6:7], -v[4:5], 1.0
	v_fmac_f64_e32 v[42:43], v[2:3], v[16:17]
	v_mov_b64_e32 v[16:17], v[28:29]
	v_add_f64 v[8:9], -v[6:7], 1.0
	v_fmac_f64_e32 v[16:17], v[2:3], v[42:43]
	v_mov_b64_e32 v[42:43], v[30:31]
	v_add_f64 v[4:5], v[8:9], -v[4:5]
	v_fmac_f64_e32 v[42:43], v[2:3], v[16:17]
	v_mov_b64_e32 v[16:17], v[32:33]
	v_mul_f64 v[8:9], v[2:3], v[2:3]
	v_fmac_f64_e32 v[16:17], v[2:3], v[42:43]
	v_fma_f64 v[4:5], v[10:11], -v[12:13], v[4:5]
	v_fmac_f64_e32 v[4:5], v[8:9], v[16:17]
	v_add_f64 v[4:5], v[6:7], v[4:5]
	v_mov_b64_e32 v[6:7], v[34:35]
	v_fmac_f64_e32 v[6:7], s[80:81], v[2:3]
	v_mov_b64_e32 v[8:9], v[36:37]
	v_fmac_f64_e32 v[8:9], v[2:3], v[6:7]
	;; [unrolled: 2-line block ×4, first 2 shown]
	v_mul_f64 v[6:7], v[10:11], -v[2:3]
	v_mul_f64 v[16:17], v[12:13], 0.5
	v_fmac_f64_e32 v[16:17], v[6:7], v[8:9]
	v_fma_f64 v[2:3], v[2:3], v[16:17], -v[12:13]
	v_fmac_f64_e32 v[2:3], s[76:77], v[6:7]
	v_and_b32_e32 v0, 1, v15
	v_add_f64 v[2:3], v[10:11], -v[2:3]
	v_cmp_eq_u32_e64 s[2:3], 0, v0
	v_mov_b32_e32 v8, 0
	v_mov_b32_e32 v9, 0x402e0000
	v_cndmask_b32_e64 v0, v4, v2, s[2:3]
	v_cndmask_b32_e64 v2, v5, v3, s[2:3]
	v_lshlrev_b32_e32 v3, 30, v15
	v_xor_b32_e32 v1, v3, v1
	v_bitop3_b32 v1, v2, v1, s33 bitop3:0x78
	v_cndmask_b32_e32 v0, 0, v0, vcc
	v_cndmask_b32_e64 v1, v67, -v1, vcc
	scratch_store_dwordx2 off, v[0:1], off offset:40
	global_load_dwordx2 v[0:1], v[100:101], off offset:24
	s_mov_b32 s2, 0
	s_mov_b32 s3, 0xc0180000
                                        ; implicit-def: $vgpr15
	s_waitcnt vmcnt(0)
	v_mul_f64 v[2:3], v[20:21], v[0:1]
	v_fma_f64 v[4:5], -v[2:3], v[2:3], v[8:9]
	v_mul_f64 v[6:7], v[2:3], s[2:3]
	v_mul_f64 v[4:5], v[2:3], v[4:5]
	v_fma_f64 v[2:3], v[2:3], v[6:7], v[8:9]
	v_div_scale_f64 v[6:7], s[2:3], v[2:3], v[2:3], v[4:5]
	v_rcp_f64_e32 v[8:9], v[6:7]
	s_nop 0
	v_fma_f64 v[10:11], -v[6:7], v[8:9], 1.0
	v_fmac_f64_e32 v[8:9], v[8:9], v[10:11]
	v_fma_f64 v[10:11], -v[6:7], v[8:9], 1.0
	v_fmac_f64_e32 v[8:9], v[8:9], v[10:11]
	v_div_scale_f64 v[10:11], vcc, v[4:5], v[2:3], v[4:5]
	v_mul_f64 v[12:13], v[10:11], v[8:9]
	v_fma_f64 v[6:7], -v[6:7], v[12:13], v[10:11]
	s_nop 1
	v_div_fmas_f64 v[6:7], v[6:7], v[8:9], v[12:13]
	v_div_fixup_f64 v[2:3], v[6:7], v[2:3], v[4:5]
	v_and_b32_e32 v5, 0x7fffffff, v3
	v_mov_b32_e32 v4, v2
	v_div_scale_f64 v[6:7], s[4:5], v[4:5], v[4:5], 1.0
	v_rcp_f64_e32 v[8:9], v[6:7]
	v_cmp_gt_f64_e64 s[2:3], |v[2:3]|, 1.0
	s_mov_b32 s4, 0xb5e68a13
	s_mov_b32 s5, 0x3eeba404
	v_fma_f64 v[10:11], -v[6:7], v[8:9], 1.0
	v_fmac_f64_e32 v[8:9], v[8:9], v[10:11]
	v_fma_f64 v[10:11], -v[6:7], v[8:9], 1.0
	v_fmac_f64_e32 v[8:9], v[8:9], v[10:11]
	v_div_scale_f64 v[10:11], vcc, 1.0, v[4:5], 1.0
	v_mul_f64 v[12:13], v[10:11], v[8:9]
	v_fma_f64 v[6:7], -v[6:7], v[12:13], v[10:11]
	scratch_load_dwordx2 v[10:11], off, off offset:72 ; 8-byte Folded Reload
	s_nop 0
	v_div_fmas_f64 v[6:7], v[6:7], v[8:9], v[12:13]
	scratch_load_dwordx2 v[8:9], off, off offset:64 ; 8-byte Folded Reload
	scratch_load_dwordx2 v[12:13], off, off offset:192 ; 8-byte Folded Reload
	v_div_fixup_f64 v[6:7], v[6:7], |v[2:3]|, 1.0
	v_cndmask_b32_e64 v5, v5, v7, s[2:3]
	v_cndmask_b32_e64 v4, v2, v6, s[2:3]
	v_mul_f64 v[6:7], v[4:5], v[4:5]
	s_waitcnt vmcnt(1)
	v_fmac_f64_e32 v[8:9], s[4:5], v[6:7]
	v_fmac_f64_e32 v[10:11], v[6:7], v[8:9]
	scratch_load_dwordx2 v[8:9], off, off offset:80 ; 8-byte Folded Reload
	s_mov_b32 s4, 0x336a0500
	s_mov_b32 s5, 0x3fedd9ad
	s_waitcnt vmcnt(0)
	v_fmac_f64_e32 v[8:9], v[6:7], v[10:11]
	scratch_load_dwordx2 v[10:11], off, off offset:88 ; 8-byte Folded Reload
	s_waitcnt vmcnt(0)
	v_fmac_f64_e32 v[10:11], v[6:7], v[8:9]
	scratch_load_dwordx2 v[8:9], off, off offset:96 ; 8-byte Folded Reload
	;; [unrolled: 3-line block ×13, first 2 shown]
	s_waitcnt vmcnt(0)
	v_fmac_f64_e32 v[10:11], v[6:7], v[8:9]
	v_fmac_f64_e32 v[12:13], v[6:7], v[10:11]
	v_mov_b64_e32 v[8:9], v[78:79]
	v_fmac_f64_e32 v[8:9], v[6:7], v[12:13]
	v_mov_b64_e32 v[10:11], v[80:81]
	v_fmac_f64_e32 v[10:11], v[6:7], v[8:9]
	v_mul_f64 v[6:7], v[6:7], v[10:11]
	v_fmac_f64_e32 v[4:5], v[4:5], v[6:7]
	scratch_load_dwordx2 v[6:7], off, off offset:200 ; 8-byte Folded Reload
                                        ; implicit-def: $vgpr10_vgpr11
                                        ; implicit-def: $vgpr12_vgpr13
	s_waitcnt vmcnt(0)
	v_fma_f64 v[6:7], s[4:5], v[6:7], -v[4:5]
	v_cndmask_b32_e64 v2, v4, v6, s[2:3]
	v_cndmask_b32_e64 v4, v5, v7, s[2:3]
	s_brev_b32 s2, -2
	v_bfi_b32 v3, s2, v4, v3
	v_fma_f64 v[0:1], v[20:21], v[0:1], -v[2:3]
	v_add_f64 v[0:1], v[0:1], v[0:1]
	v_cmp_nlt_f64_e64 s[4:5], |v[0:1]|, s[46:47]
	v_trig_preop_f64 v[6:7], |v[0:1]|, 0
	v_trig_preop_f64 v[4:5], |v[0:1]|, 1
	v_ldexp_f64 v[8:9], |v[0:1]|, s19
	v_trig_preop_f64 v[2:3], |v[0:1]|, 2
	v_and_b32_e32 v14, 0x7fffffff, v1
	s_and_saveexec_b64 s[2:3], s[4:5]
	s_xor_b64 s[16:17], exec, s[2:3]
	s_cbranch_execz .LBB0_99
; %bb.98:                               ;   in Loop: Header=BB0_34 Depth=1
	v_cmp_ge_f64_e64 vcc, |v[0:1]|, s[48:49]
	s_nop 1
	v_cndmask_b32_e32 v11, v14, v9, vcc
	v_cndmask_b32_e32 v10, v0, v8, vcc
	v_mul_f64 v[16:17], v[6:7], v[10:11]
	v_mul_f64 v[12:13], v[4:5], v[10:11]
	v_fma_f64 v[42:43], v[6:7], v[10:11], -v[16:17]
	v_add_f64 v[44:45], v[12:13], v[42:43]
	v_add_f64 v[58:59], v[44:45], -v[12:13]
	v_add_f64 v[42:43], v[42:43], -v[58:59]
	;; [unrolled: 1-line block ×4, first 2 shown]
	v_add_f64 v[42:43], v[42:43], v[58:59]
	v_fma_f64 v[12:13], v[4:5], v[10:11], -v[12:13]
	v_mul_f64 v[58:59], v[2:3], v[10:11]
	v_add_f64 v[60:61], v[58:59], v[12:13]
	v_add_f64 v[46:47], v[16:17], v[44:45]
	;; [unrolled: 1-line block ×3, first 2 shown]
	v_ldexp_f64 v[48:49], v[46:47], -2
	v_add_f64 v[16:17], v[46:47], -v[16:17]
	v_add_f64 v[46:47], v[62:63], -v[60:61]
	;; [unrolled: 1-line block ×5, first 2 shown]
	v_add_f64 v[42:43], v[42:43], v[46:47]
	v_add_f64 v[46:47], v[60:61], -v[58:59]
	v_add_f64 v[12:13], v[12:13], -v[46:47]
	v_add_f64 v[46:47], v[60:61], -v[46:47]
	v_add_f64 v[46:47], v[58:59], -v[46:47]
	v_add_f64 v[16:17], v[44:45], -v[16:17]
	v_add_f64 v[12:13], v[12:13], v[46:47]
	v_fract_f64_e32 v[50:51], v[48:49]
	v_add_f64 v[44:45], v[16:17], v[62:63]
	v_add_f64 v[12:13], v[12:13], v[42:43]
	v_fma_f64 v[10:11], v[2:3], v[10:11], -v[58:59]
	v_add_f64 v[16:17], v[44:45], -v[16:17]
	v_add_f64 v[10:11], v[10:11], v[12:13]
	v_ldexp_f64 v[12:13], v[50:51], 2
	v_cmp_neq_f64_e64 vcc, |v[48:49]|, s[50:51]
	v_add_f64 v[16:17], v[62:63], -v[16:17]
	v_add_f64 v[10:11], v[16:17], v[10:11]
	v_cndmask_b32_e32 v13, 0, v13, vcc
	v_cndmask_b32_e32 v12, 0, v12, vcc
	v_add_f64 v[16:17], v[44:45], v[12:13]
	v_cmp_gt_f64_e32 vcc, 0, v[16:17]
	s_nop 1
	v_cndmask_b32_e32 v91, 0, v55, vcc
	v_add_f64 v[12:13], v[12:13], v[90:91]
	v_add_f64 v[16:17], v[44:45], v[12:13]
	v_cvt_i32_f64_e32 v15, v[16:17]
	v_cvt_f64_i32_e32 v[16:17], v15
	v_add_f64 v[12:13], v[12:13], -v[16:17]
	v_add_f64 v[16:17], v[44:45], v[12:13]
	v_add_f64 v[12:13], v[16:17], -v[12:13]
	v_cmp_le_f64_e32 vcc, 0.5, v[16:17]
	v_add_f64 v[12:13], v[44:45], -v[12:13]
	v_add_f64 v[10:11], v[10:11], v[12:13]
	v_cndmask_b32_e32 v91, 0, v56, vcc
	v_add_f64 v[12:13], v[16:17], -v[90:91]
	v_add_f64 v[16:17], v[12:13], v[10:11]
	v_add_f64 v[12:13], v[16:17], -v[12:13]
	v_add_f64 v[10:11], v[10:11], -v[12:13]
	v_mul_f64 v[12:13], v[16:17], s[52:53]
	v_fma_f64 v[42:43], v[16:17], s[52:53], -v[12:13]
	v_fmac_f64_e32 v[42:43], s[54:55], v[16:17]
	v_fmac_f64_e32 v[42:43], s[52:53], v[10:11]
	v_add_f64 v[10:11], v[12:13], v[42:43]
	v_add_f64 v[12:13], v[10:11], -v[12:13]
	v_addc_co_u32_e64 v15, s[2:3], 0, v15, vcc
	v_add_f64 v[12:13], v[42:43], -v[12:13]
.LBB0_99:                               ;   in Loop: Header=BB0_34 Depth=1
	s_andn2_saveexec_b64 s[2:3], s[16:17]
	s_cbranch_execz .LBB0_101
; %bb.100:                              ;   in Loop: Header=BB0_34 Depth=1
	v_mul_f64 v[10:11], |v[0:1]|, s[56:57]
	v_rndne_f64_e32 v[16:17], v[10:11]
	s_mov_b32 s58, s52
	v_fma_f64 v[10:11], v[16:17], s[58:59], |v[0:1]|
	v_mul_f64 v[42:43], v[16:17], s[60:61]
	v_add_f64 v[46:47], v[10:11], v[42:43]
	v_fma_f64 v[12:13], s[60:61], v[16:17], v[10:11]
	s_mov_b32 s16, s60
	s_mov_b32 s17, s55
	v_add_f64 v[10:11], v[10:11], -v[46:47]
	v_fma_f64 v[44:45], s[16:17], v[16:17], v[42:43]
	v_add_f64 v[10:11], v[10:11], v[42:43]
	v_add_f64 v[42:43], v[46:47], -v[12:13]
	v_add_f64 v[10:11], v[42:43], v[10:11]
	v_add_f64 v[42:43], v[10:11], -v[44:45]
	v_fmac_f64_e32 v[42:43], s[62:63], v[16:17]
	v_add_f64 v[10:11], v[12:13], v[42:43]
	v_add_f64 v[12:13], v[10:11], -v[12:13]
	v_add_f64 v[12:13], v[42:43], -v[12:13]
	v_cvt_i32_f64_e32 v15, v[16:17]
.LBB0_101:                              ;   in Loop: Header=BB0_34 Depth=1
	s_or_b64 exec, exec, s[2:3]
	v_mul_f64 v[16:17], v[10:11], v[10:11]
	v_mov_b64_e32 v[48:49], v[24:25]
	v_mul_f64 v[42:43], v[16:17], 0.5
	v_fmac_f64_e32 v[48:49], s[66:67], v[16:17]
	v_mov_b64_e32 v[50:51], v[26:27]
	v_add_f64 v[44:45], -v[42:43], 1.0
	v_fmac_f64_e32 v[50:51], v[16:17], v[48:49]
	v_mov_b64_e32 v[48:49], v[28:29]
	v_add_f64 v[46:47], -v[44:45], 1.0
	v_fmac_f64_e32 v[48:49], v[16:17], v[50:51]
	v_mov_b64_e32 v[50:51], v[30:31]
	v_add_f64 v[42:43], v[46:47], -v[42:43]
	v_fmac_f64_e32 v[50:51], v[16:17], v[48:49]
	v_mov_b64_e32 v[48:49], v[32:33]
	v_mul_f64 v[46:47], v[16:17], v[16:17]
	v_fmac_f64_e32 v[48:49], v[16:17], v[50:51]
	v_fma_f64 v[42:43], v[10:11], -v[12:13], v[42:43]
	v_fmac_f64_e32 v[42:43], v[46:47], v[48:49]
	v_add_f64 v[42:43], v[44:45], v[42:43]
	v_mov_b64_e32 v[44:45], v[34:35]
	v_fmac_f64_e32 v[44:45], s[80:81], v[16:17]
	v_mov_b64_e32 v[46:47], v[36:37]
	v_fmac_f64_e32 v[46:47], v[16:17], v[44:45]
	;; [unrolled: 2-line block ×4, first 2 shown]
	v_mul_f64 v[44:45], v[10:11], -v[16:17]
	v_mul_f64 v[48:49], v[12:13], 0.5
	v_fmac_f64_e32 v[48:49], v[44:45], v[46:47]
	v_fma_f64 v[12:13], v[16:17], v[48:49], -v[12:13]
	v_fmac_f64_e32 v[12:13], s[76:77], v[44:45]
	v_add_f64 v[10:11], v[10:11], -v[12:13]
	v_and_b32_e32 v12, 1, v15
	v_xor_b32_e32 v11, 0x80000000, v11
	v_cmp_eq_u32_e32 vcc, 0, v12
	v_lshlrev_b32_e32 v12, 30, v15
                                        ; implicit-def: $vgpr15
	s_nop 0
	v_cndmask_b32_e32 v11, v11, v43, vcc
	v_cndmask_b32_e32 v10, v10, v42, vcc
	v_bitop3_b32 v11, v11, v12, s33 bitop3:0x78
	v_cmp_class_f64_e64 vcc, v[0:1], s96
                                        ; implicit-def: $vgpr12_vgpr13
	s_nop 1
	v_cndmask_b32_e32 v10, 0, v10, vcc
	v_cndmask_b32_e32 v11, v57, v11, vcc
	scratch_store_dwordx2 off, v[10:11], off offset:48
                                        ; implicit-def: $vgpr10_vgpr11
	s_and_saveexec_b64 s[2:3], s[4:5]
	s_xor_b64 s[16:17], exec, s[2:3]
	s_cbranch_execz .LBB0_103
; %bb.102:                              ;   in Loop: Header=BB0_34 Depth=1
	v_cmp_ge_f64_e64 s[2:3], |v[0:1]|, s[48:49]
	s_nop 1
	v_cndmask_b32_e64 v9, v14, v9, s[2:3]
	v_cndmask_b32_e64 v8, v0, v8, s[2:3]
	v_mul_f64 v[12:13], v[6:7], v[8:9]
	v_mul_f64 v[10:11], v[4:5], v[8:9]
	v_fma_f64 v[6:7], v[6:7], v[8:9], -v[12:13]
	v_add_f64 v[14:15], v[10:11], v[6:7]
	v_add_f64 v[46:47], v[14:15], -v[10:11]
	v_add_f64 v[6:7], v[6:7], -v[46:47]
	;; [unrolled: 1-line block ×4, first 2 shown]
	v_fma_f64 v[4:5], v[4:5], v[8:9], -v[10:11]
	v_mul_f64 v[10:11], v[2:3], v[8:9]
	v_add_f64 v[6:7], v[6:7], v[46:47]
	v_add_f64 v[46:47], v[10:11], v[4:5]
	v_add_f64 v[16:17], v[12:13], v[14:15]
	v_add_f64 v[48:49], v[46:47], v[6:7]
	v_ldexp_f64 v[42:43], v[16:17], -2
	v_add_f64 v[12:13], v[16:17], -v[12:13]
	v_add_f64 v[16:17], v[48:49], -v[46:47]
	v_add_f64 v[6:7], v[6:7], -v[16:17]
	v_add_f64 v[16:17], v[48:49], -v[16:17]
	v_add_f64 v[16:17], v[46:47], -v[16:17]
	v_add_f64 v[6:7], v[6:7], v[16:17]
	v_add_f64 v[16:17], v[46:47], -v[10:11]
	v_add_f64 v[4:5], v[4:5], -v[16:17]
	;; [unrolled: 1-line block ×4, first 2 shown]
	v_add_f64 v[4:5], v[4:5], v[16:17]
	v_fract_f64_e32 v[44:45], v[42:43]
	v_add_f64 v[4:5], v[4:5], v[6:7]
	v_fma_f64 v[2:3], v[2:3], v[8:9], -v[10:11]
	v_add_f64 v[12:13], v[14:15], -v[12:13]
	v_add_f64 v[2:3], v[2:3], v[4:5]
	v_ldexp_f64 v[4:5], v[44:45], 2
	v_cmp_neq_f64_e64 s[2:3], |v[42:43]|, s[50:51]
	v_add_f64 v[14:15], v[12:13], v[48:49]
	v_add_f64 v[12:13], v[14:15], -v[12:13]
	v_cndmask_b32_e64 v5, 0, v5, s[2:3]
	v_cndmask_b32_e64 v4, 0, v4, s[2:3]
	v_add_f64 v[6:7], v[14:15], v[4:5]
	v_cmp_gt_f64_e64 s[2:3], 0, v[6:7]
	v_add_f64 v[12:13], v[48:49], -v[12:13]
	v_add_f64 v[2:3], v[12:13], v[2:3]
	v_cndmask_b32_e64 v91, 0, v55, s[2:3]
	v_add_f64 v[4:5], v[4:5], v[90:91]
	v_add_f64 v[6:7], v[14:15], v[4:5]
	v_cvt_i32_f64_e32 v8, v[6:7]
	v_cvt_f64_i32_e32 v[6:7], v8
	v_add_f64 v[4:5], v[4:5], -v[6:7]
	v_add_f64 v[6:7], v[14:15], v[4:5]
	v_add_f64 v[4:5], v[6:7], -v[4:5]
	v_cmp_le_f64_e64 s[2:3], 0.5, v[6:7]
	v_add_f64 v[4:5], v[14:15], -v[4:5]
	v_add_f64 v[2:3], v[2:3], v[4:5]
	v_cndmask_b32_e64 v91, 0, v56, s[2:3]
	v_add_f64 v[4:5], v[6:7], -v[90:91]
	v_add_f64 v[6:7], v[4:5], v[2:3]
	v_add_f64 v[4:5], v[6:7], -v[4:5]
	v_add_f64 v[2:3], v[2:3], -v[4:5]
	v_mul_f64 v[4:5], v[6:7], s[52:53]
	v_addc_co_u32_e64 v15, s[4:5], 0, v8, s[2:3]
	v_fma_f64 v[8:9], v[6:7], s[52:53], -v[4:5]
	v_fmac_f64_e32 v[8:9], s[54:55], v[6:7]
	v_fmac_f64_e32 v[8:9], s[52:53], v[2:3]
	v_add_f64 v[10:11], v[4:5], v[8:9]
	v_add_f64 v[2:3], v[10:11], -v[4:5]
	v_add_f64 v[12:13], v[8:9], -v[2:3]
.LBB0_103:                              ;   in Loop: Header=BB0_34 Depth=1
	s_andn2_saveexec_b64 s[2:3], s[16:17]
	s_cbranch_execz .LBB0_105
; %bb.104:                              ;   in Loop: Header=BB0_34 Depth=1
	v_mul_f64 v[2:3], |v[0:1]|, s[56:57]
	v_rndne_f64_e32 v[2:3], v[2:3]
	s_mov_b32 s58, s52
	v_fma_f64 v[4:5], v[2:3], s[58:59], |v[0:1]|
	v_mul_f64 v[8:9], v[2:3], s[60:61]
	v_add_f64 v[12:13], v[4:5], v[8:9]
	v_fma_f64 v[6:7], s[60:61], v[2:3], v[4:5]
	s_mov_b32 s4, s60
	s_mov_b32 s5, s55
	v_add_f64 v[4:5], v[4:5], -v[12:13]
	v_fma_f64 v[10:11], s[4:5], v[2:3], v[8:9]
	v_add_f64 v[4:5], v[4:5], v[8:9]
	v_add_f64 v[8:9], v[12:13], -v[6:7]
	v_add_f64 v[4:5], v[8:9], v[4:5]
	v_add_f64 v[4:5], v[4:5], -v[10:11]
	v_fmac_f64_e32 v[4:5], s[62:63], v[2:3]
	v_add_f64 v[10:11], v[6:7], v[4:5]
	v_add_f64 v[6:7], v[10:11], -v[6:7]
	v_add_f64 v[12:13], v[4:5], -v[6:7]
	v_cvt_i32_f64_e32 v15, v[2:3]
.LBB0_105:                              ;   in Loop: Header=BB0_34 Depth=1
	s_or_b64 exec, exec, s[2:3]
	v_mul_f64 v[2:3], v[10:11], v[10:11]
	v_mov_b64_e32 v[16:17], v[24:25]
	v_mul_f64 v[4:5], v[2:3], 0.5
	v_fmac_f64_e32 v[16:17], s[66:67], v[2:3]
	v_mov_b64_e32 v[42:43], v[26:27]
	v_add_f64 v[6:7], -v[4:5], 1.0
	v_fmac_f64_e32 v[42:43], v[2:3], v[16:17]
	v_mov_b64_e32 v[16:17], v[28:29]
	v_add_f64 v[8:9], -v[6:7], 1.0
	v_fmac_f64_e32 v[16:17], v[2:3], v[42:43]
	v_mov_b64_e32 v[42:43], v[30:31]
	v_add_f64 v[4:5], v[8:9], -v[4:5]
	v_fmac_f64_e32 v[42:43], v[2:3], v[16:17]
	v_mov_b64_e32 v[16:17], v[32:33]
	v_mul_f64 v[8:9], v[2:3], v[2:3]
	v_fmac_f64_e32 v[16:17], v[2:3], v[42:43]
	v_fma_f64 v[4:5], v[10:11], -v[12:13], v[4:5]
	v_fmac_f64_e32 v[4:5], v[8:9], v[16:17]
	v_add_f64 v[4:5], v[6:7], v[4:5]
	v_mov_b64_e32 v[6:7], v[34:35]
	v_fmac_f64_e32 v[6:7], s[80:81], v[2:3]
	v_mov_b64_e32 v[8:9], v[36:37]
	v_fmac_f64_e32 v[8:9], v[2:3], v[6:7]
	;; [unrolled: 2-line block ×4, first 2 shown]
	v_mul_f64 v[6:7], v[10:11], -v[2:3]
	v_mul_f64 v[16:17], v[12:13], 0.5
	v_fmac_f64_e32 v[16:17], v[6:7], v[8:9]
	v_fma_f64 v[2:3], v[2:3], v[16:17], -v[12:13]
	v_fmac_f64_e32 v[2:3], s[76:77], v[6:7]
	v_and_b32_e32 v0, 1, v15
	v_add_f64 v[2:3], v[10:11], -v[2:3]
	v_cmp_eq_u32_e64 s[2:3], 0, v0
	s_nop 1
	v_cndmask_b32_e64 v0, v4, v2, s[2:3]
	v_cndmask_b32_e64 v2, v5, v3, s[2:3]
	v_lshlrev_b32_e32 v3, 30, v15
	v_xor_b32_e32 v1, v3, v1
	v_bitop3_b32 v1, v2, v1, s33 bitop3:0x78
	v_cndmask_b32_e32 v0, 0, v0, vcc
	v_cndmask_b32_e64 v1, v67, -v1, vcc
	scratch_store_dwordx2 off, v[0:1], off offset:56
	v_mad_u64_u32 v[0:1], s[2:3], v96, s15, v[98:99]
	v_cndmask_b32_e64 v1, 0, 1, s[0:1]
	v_sub_u32_e32 v0, v0, v1
	v_ashrrev_i32_e32 v1, 31, v0
	v_readlane_b32 s0, v127, 6
	v_lshlrev_b64 v[0:1], 5, v[0:1]
	v_readlane_b32 s1, v127, 7
	s_nop 1
	v_lshl_add_u64 v[4:5], s[0:1], 0, v[0:1]
	global_load_dwordx4 v[0:3], v[4:5], off offset:16
	s_nop 0
	global_load_dwordx4 v[4:7], v[4:5], off
	s_waitcnt vmcnt(1)
	v_mul_f64 v[0:1], v[18:19], v[0:1]
	s_waitcnt vmcnt(0)
	v_mul_f64 v[102:103], v[18:19], v[4:5]
	v_mul_f64 v[104:105], v[18:19], v[6:7]
	v_cmp_lt_i32_e32 vcc, v2, v3
	s_and_saveexec_b64 s[38:39], vcc
	s_cbranch_execz .LBB0_32
; %bb.106:                              ;   in Loop: Header=BB0_34 Depth=1
	v_readlane_b32 s0, v127, 4
	s_mov_b64 s[88:89], 0
	v_readlane_b32 s1, v127, 5
	v_mul_lo_u32 v58, v96, s0
	s_branch .LBB0_108
.LBB0_107:                              ;   in Loop: Header=BB0_108 Depth=2
	s_or_b64 exec, exec, s[90:91]
	s_waitcnt vmcnt(0)
	v_bfe_i32 v16, v59, 0, 16
	v_mov_b32_e32 v17, 0
	v_lshl_add_u32 v16, v16, 4, v17
	scratch_load_dwordx4 v[48:51], v16, off
	v_mul_f64 v[10:11], v[10:11], v[44:45]
	v_mul_f64 v[6:7], v[6:7], v[44:45]
	v_add_u32_e32 v2, 1, v2
	v_fma_f64 v[8:9], v[8:9], v[46:47], -v[10:11]
	v_fma_f64 v[4:5], v[4:5], v[46:47], -v[6:7]
	v_cmp_ge_i32_e32 vcc, v2, v3
	v_add_f64 v[104:105], v[104:105], v[8:9]
	v_add_f64 v[0:1], v[0:1], v[4:5]
	s_or_b64 s[88:89], vcc, s[88:89]
	s_waitcnt vmcnt(0)
	v_mul_f64 v[42:43], v[46:47], v[50:51]
	v_mul_f64 v[16:17], v[44:45], v[50:51]
	v_fmac_f64_e32 v[42:43], v[44:45], v[48:49]
	v_fma_f64 v[16:17], v[46:47], v[48:49], -v[16:17]
	v_mul_f64 v[14:15], v[14:15], v[42:43]
	v_fma_f64 v[12:13], v[12:13], v[16:17], -v[14:15]
	v_add_f64 v[102:103], v[102:103], v[12:13]
	s_andn2_b64 exec, exec, s[88:89]
	s_cbranch_execz .LBB0_31
.LBB0_108:                              ;   Parent Loop BB0_34 Depth=1
                                        ; =>  This Loop Header: Depth=2
                                        ;       Child Loop BB0_120 Depth 3
	v_add_u32_e32 v6, v2, v58
	v_mov_b64_e32 v[4:5], s[34:35]
	v_mad_i64_i32 v[16:17], s[0:1], v6, s97, v[4:5]
	global_load_dwordx4 v[42:45], v[16:17], off
	global_load_dwordx4 v[12:15], v[16:17], off offset:16
	global_load_dwordx4 v[4:7], v[16:17], off offset:48
	;; [unrolled: 1-line block ×3, first 2 shown]
	global_load_ushort v59, v[16:17], off offset:64
	s_mov_b32 s0, 0
	s_mov_b32 s1, 0x40180000
	s_waitcnt vmcnt(4)
	v_add_f64 v[16:17], v[18:19], -v[42:43]
	v_add_f64 v[42:43], -v[44:45], 0
	v_mul_f64 v[98:99], v[42:43], 0.5
	v_mul_f64 v[44:45], v[42:43], 0
	v_fmac_f64_e32 v[98:99], 0, v[16:17]
	v_fma_f64 v[96:97], v[16:17], 0.5, -v[44:45]
	v_mul_f64 v[44:45], v[98:99], v[98:99]
	v_fma_f64 v[42:43], v[96:97], v[96:97], v[44:45]
	v_cmp_gt_f64_e32 vcc, s[42:43], v[42:43]
	v_mul_f64 v[16:17], v[96:97], v[96:97]
	v_add_f64 v[16:17], v[16:17], -v[44:45]
	v_cndmask_b32_e32 v46, 0, v52, vcc
	v_ldexp_f64 v[46:47], v[42:43], v46
	v_rsq_f64_e32 v[48:49], v[46:47]
	v_cndmask_b32_e32 v60, 0, v53, vcc
	v_cmp_class_f64_e32 vcc, v[46:47], v54
	v_mul_f64 v[42:43], v[96:97], v[98:99]
	v_mul_f64 v[44:45], v[46:47], v[48:49]
	v_mul_f64 v[48:49], v[48:49], 0.5
	v_fma_f64 v[50:51], -v[48:49], v[44:45], 0.5
	v_fmac_f64_e32 v[44:45], v[44:45], v[50:51]
	v_fmac_f64_e32 v[48:49], v[48:49], v[50:51]
	v_fma_f64 v[50:51], -v[44:45], v[44:45], v[46:47]
	v_fmac_f64_e32 v[44:45], v[50:51], v[48:49]
	v_fma_f64 v[50:51], -v[44:45], v[44:45], v[46:47]
	v_fmac_f64_e32 v[44:45], v[50:51], v[48:49]
	v_ldexp_f64 v[44:45], v[44:45], v60
	v_cndmask_b32_e32 v45, v45, v47, vcc
	v_cndmask_b32_e32 v44, v44, v46, vcc
	v_cmp_ngt_f64_e32 vcc, s[0:1], v[44:45]
	v_add_f64 v[42:43], v[42:43], v[42:43]
                                        ; implicit-def: $vgpr44_vgpr45
                                        ; implicit-def: $vgpr46_vgpr47
	s_and_saveexec_b64 s[0:1], vcc
	s_xor_b64 s[0:1], exec, s[0:1]
	s_cbranch_execz .LBB0_110
; %bb.109:                              ;   in Loop: Header=BB0_108 Depth=2
	s_mov_b32 s2, 0xafdb7b46
	s_mov_b32 s3, 0xbfd19dc7
	v_add_f64 v[50:51], v[16:17], s[2:3]
	v_mul_f64 v[46:47], v[42:43], v[42:43]
	v_mul_f64 v[62:63], v[42:43], 0
	v_fma_f64 v[60:61], v[50:51], v[50:51], v[46:47]
	v_fma_f64 v[48:49], s[98:99], v[50:51], v[62:63]
	v_div_scale_f64 v[64:65], s[2:3], v[60:61], v[60:61], v[48:49]
	v_rcp_f64_e32 v[66:67], v[64:65]
	v_add_f64 v[16:17], v[16:17], s[40:41]
	v_fmac_f64_e32 v[46:47], v[16:17], v[16:17]
	v_fmac_f64_e32 v[62:63], s[94:95], v[16:17]
	v_fma_f64 v[68:69], -v[64:65], v[66:67], 1.0
	v_fmac_f64_e32 v[66:67], v[66:67], v[68:69]
	v_fma_f64 v[68:69], -v[64:65], v[66:67], 1.0
	v_fmac_f64_e32 v[66:67], v[66:67], v[68:69]
	v_div_scale_f64 v[68:69], vcc, v[48:49], v[60:61], v[48:49]
	v_mul_f64 v[70:71], v[68:69], v[66:67]
	v_fma_f64 v[64:65], -v[64:65], v[70:71], v[68:69]
	v_fma_f64 v[44:45], v[96:97], 0, -v[98:99]
	s_nop 0
	v_div_fmas_f64 v[64:65], v[64:65], v[66:67], v[70:71]
	v_div_fixup_f64 v[48:49], v[64:65], v[60:61], v[48:49]
	v_mul_f64 v[64:65], v[42:43], s[98:99]
	v_fma_f64 v[50:51], v[50:51], 0, -v[64:65]
	v_div_scale_f64 v[64:65], s[2:3], v[60:61], v[60:61], v[50:51]
	v_rcp_f64_e32 v[66:67], v[64:65]
	v_mul_f64 v[42:43], v[42:43], s[94:95]
	v_fma_f64 v[16:17], v[16:17], 0, -v[42:43]
	v_div_scale_f64 v[42:43], s[2:3], v[46:47], v[46:47], v[16:17]
	v_fma_f64 v[68:69], -v[64:65], v[66:67], 1.0
	v_fmac_f64_e32 v[66:67], v[66:67], v[68:69]
	v_fma_f64 v[68:69], -v[64:65], v[66:67], 1.0
	v_fmac_f64_e32 v[66:67], v[66:67], v[68:69]
	v_div_scale_f64 v[68:69], vcc, v[50:51], v[60:61], v[50:51]
	v_mul_f64 v[70:71], v[68:69], v[66:67]
	v_fma_f64 v[64:65], -v[64:65], v[70:71], v[68:69]
	v_fmac_f64_e32 v[96:97], 0, v[98:99]
	s_nop 0
	v_div_fmas_f64 v[64:65], v[64:65], v[66:67], v[70:71]
	v_div_fixup_f64 v[50:51], v[64:65], v[60:61], v[50:51]
	v_div_scale_f64 v[60:61], s[2:3], v[46:47], v[46:47], v[62:63]
	v_rcp_f64_e32 v[64:65], v[60:61]
                                        ; implicit-def: $vgpr98_vgpr99
	s_nop 0
	v_fma_f64 v[66:67], -v[60:61], v[64:65], 1.0
	v_fmac_f64_e32 v[64:65], v[64:65], v[66:67]
	v_fma_f64 v[66:67], -v[60:61], v[64:65], 1.0
	v_fmac_f64_e32 v[64:65], v[64:65], v[66:67]
	v_div_scale_f64 v[66:67], vcc, v[62:63], v[46:47], v[62:63]
	v_mul_f64 v[68:69], v[66:67], v[64:65]
	v_fma_f64 v[60:61], -v[60:61], v[68:69], v[66:67]
	s_nop 1
	v_div_fmas_f64 v[60:61], v[60:61], v[64:65], v[68:69]
	v_div_fixup_f64 v[60:61], v[60:61], v[46:47], v[62:63]
	v_rcp_f64_e32 v[62:63], v[42:43]
	s_nop 0
	v_fma_f64 v[64:65], -v[42:43], v[62:63], 1.0
	v_fmac_f64_e32 v[62:63], v[62:63], v[64:65]
	v_fma_f64 v[64:65], -v[42:43], v[62:63], 1.0
	v_fmac_f64_e32 v[62:63], v[62:63], v[64:65]
	v_div_scale_f64 v[64:65], vcc, v[16:17], v[46:47], v[16:17]
	v_mul_f64 v[66:67], v[64:65], v[62:63]
	v_fma_f64 v[42:43], -v[42:43], v[66:67], v[64:65]
	s_nop 1
	v_div_fmas_f64 v[42:43], v[42:43], v[62:63], v[66:67]
	v_div_fixup_f64 v[16:17], v[42:43], v[46:47], v[16:17]
	v_add_f64 v[16:17], v[50:51], v[16:17]
	v_add_f64 v[42:43], v[48:49], v[60:61]
	v_mul_f64 v[46:47], v[96:97], v[16:17]
	v_fma_f64 v[46:47], v[44:45], v[42:43], -v[46:47]
	v_mul_f64 v[44:45], v[44:45], v[16:17]
	v_fmac_f64_e32 v[44:45], v[96:97], v[42:43]
                                        ; implicit-def: $vgpr96_vgpr97
                                        ; implicit-def: $vgpr42_vgpr43
                                        ; implicit-def: $vgpr16_vgpr17
.LBB0_110:                              ;   in Loop: Header=BB0_108 Depth=2
	s_andn2_saveexec_b64 s[90:91], s[0:1]
	s_cbranch_execz .LBB0_107
; %bb.111:                              ;   in Loop: Header=BB0_108 Depth=2
	v_mul_f64 v[100:101], v[98:99], 0
	v_mov_b64_e32 v[106:107], v[100:101]
	v_fmac_f64_e32 v[106:107], 0x40280000, v[96:97]
	v_cmp_lt_f64_e64 vcc, |v[106:107]|, s[46:47]
	v_cmp_nlt_f64_e64 s[4:5], |v[106:107]|, s[46:47]
	v_and_b32_e32 v62, 0x7fffffff, v107
	v_trig_preop_f64 v[84:85], |v[106:107]|, 0
	v_trig_preop_f64 v[44:45], |v[106:107]|, 1
	v_ldexp_f64 v[92:93], |v[106:107]|, s19
	v_trig_preop_f64 v[46:47], |v[106:107]|, 2
                                        ; implicit-def: $vgpr60
                                        ; implicit-def: $vgpr108_vgpr109
                                        ; implicit-def: $vgpr110_vgpr111
	s_and_saveexec_b64 s[0:1], s[4:5]
	s_xor_b64 s[16:17], exec, s[0:1]
	s_cbranch_execz .LBB0_113
; %bb.112:                              ;   in Loop: Header=BB0_108 Depth=2
	v_ldexp_f64 v[60:61], |v[106:107]|, s19
	v_cmp_ge_f64_e64 s[0:1], |v[106:107]|, s[48:49]
	v_trig_preop_f64 v[48:49], |v[106:107]|, 0
	v_trig_preop_f64 v[50:51], |v[106:107]|, 1
	v_cndmask_b32_e64 v61, v62, v61, s[0:1]
	v_cndmask_b32_e64 v60, v106, v60, s[0:1]
	v_mul_f64 v[110:111], v[48:49], v[60:61]
	v_mul_f64 v[108:109], v[50:51], v[60:61]
	v_fma_f64 v[48:49], v[48:49], v[60:61], -v[110:111]
	v_add_f64 v[112:113], v[108:109], v[48:49]
	v_add_f64 v[120:121], v[112:113], -v[108:109]
	v_add_f64 v[48:49], v[48:49], -v[120:121]
	v_add_f64 v[120:121], v[112:113], -v[120:121]
	v_add_f64 v[120:121], v[108:109], -v[120:121]
	v_fma_f64 v[50:51], v[50:51], v[60:61], -v[108:109]
	v_trig_preop_f64 v[108:109], |v[106:107]|, 2
	v_add_f64 v[48:49], v[48:49], v[120:121]
	v_mul_f64 v[120:121], v[108:109], v[60:61]
	v_add_f64 v[122:123], v[120:121], v[50:51]
	v_add_f64 v[114:115], v[110:111], v[112:113]
	;; [unrolled: 1-line block ×3, first 2 shown]
	v_ldexp_f64 v[116:117], v[114:115], -2
	v_add_f64 v[110:111], v[114:115], -v[110:111]
	v_add_f64 v[114:115], v[124:125], -v[122:123]
	;; [unrolled: 1-line block ×5, first 2 shown]
	v_add_f64 v[48:49], v[48:49], v[114:115]
	v_add_f64 v[114:115], v[122:123], -v[120:121]
	v_add_f64 v[50:51], v[50:51], -v[114:115]
	v_add_f64 v[114:115], v[122:123], -v[114:115]
	v_add_f64 v[114:115], v[120:121], -v[114:115]
	v_add_f64 v[50:51], v[50:51], v[114:115]
	v_fract_f64_e32 v[118:119], v[116:117]
	v_add_f64 v[48:49], v[50:51], v[48:49]
	v_fma_f64 v[50:51], v[108:109], v[60:61], -v[120:121]
	v_add_f64 v[110:111], v[112:113], -v[110:111]
	v_add_f64 v[48:49], v[50:51], v[48:49]
	v_ldexp_f64 v[50:51], v[118:119], 2
	v_cmp_neq_f64_e64 s[0:1], |v[116:117]|, s[50:51]
	v_add_f64 v[112:113], v[110:111], v[124:125]
	v_add_f64 v[110:111], v[112:113], -v[110:111]
	v_cndmask_b32_e64 v51, 0, v51, s[0:1]
	v_cndmask_b32_e64 v50, 0, v50, s[0:1]
	v_add_f64 v[60:61], v[112:113], v[50:51]
	v_cmp_gt_f64_e64 s[0:1], 0, v[60:61]
	v_add_f64 v[110:111], v[124:125], -v[110:111]
	v_add_f64 v[48:49], v[110:111], v[48:49]
	v_cndmask_b32_e64 v91, 0, v55, s[0:1]
	v_add_f64 v[50:51], v[50:51], v[90:91]
	v_add_f64 v[60:61], v[112:113], v[50:51]
	v_cvt_i32_f64_e32 v63, v[60:61]
	v_cvt_f64_i32_e32 v[60:61], v63
	v_add_f64 v[50:51], v[50:51], -v[60:61]
	v_add_f64 v[108:109], v[112:113], v[50:51]
	v_add_f64 v[50:51], v[108:109], -v[50:51]
	v_cmp_le_f64_e64 s[0:1], 0.5, v[108:109]
	v_add_f64 v[50:51], v[112:113], -v[50:51]
	v_add_f64 v[48:49], v[48:49], v[50:51]
	v_cndmask_b32_e64 v91, 0, v56, s[0:1]
	v_add_f64 v[50:51], v[108:109], -v[90:91]
	v_add_f64 v[108:109], v[50:51], v[48:49]
	v_add_f64 v[50:51], v[108:109], -v[50:51]
	v_add_f64 v[48:49], v[48:49], -v[50:51]
	v_mul_f64 v[50:51], v[108:109], s[52:53]
	v_fma_f64 v[110:111], v[108:109], s[52:53], -v[50:51]
	v_fmac_f64_e32 v[110:111], s[54:55], v[108:109]
	v_fmac_f64_e32 v[110:111], s[52:53], v[48:49]
	v_add_f64 v[108:109], v[50:51], v[110:111]
	v_add_f64 v[48:49], v[108:109], -v[50:51]
	v_addc_co_u32_e64 v60, s[2:3], 0, v63, s[0:1]
	v_add_f64 v[110:111], v[110:111], -v[48:49]
	s_andn2_saveexec_b64 s[0:1], s[16:17]
	s_cbranch_execz .LBB0_115
	s_branch .LBB0_114
.LBB0_113:                              ;   in Loop: Header=BB0_108 Depth=2
	s_andn2_saveexec_b64 s[0:1], s[16:17]
	s_cbranch_execz .LBB0_115
.LBB0_114:                              ;   in Loop: Header=BB0_108 Depth=2
	v_mul_f64 v[48:49], |v[106:107]|, s[56:57]
	v_rndne_f64_e32 v[48:49], v[48:49]
	s_mov_b32 s58, s52
	v_fma_f64 v[50:51], v[48:49], s[58:59], |v[106:107]|
	v_mul_f64 v[108:109], v[48:49], s[60:61]
	v_add_f64 v[112:113], v[50:51], v[108:109]
	v_fma_f64 v[60:61], s[60:61], v[48:49], v[50:51]
	s_mov_b32 s2, s60
	s_mov_b32 s3, s55
	v_add_f64 v[50:51], v[50:51], -v[112:113]
	v_fma_f64 v[110:111], s[2:3], v[48:49], v[108:109]
	v_add_f64 v[50:51], v[50:51], v[108:109]
	v_add_f64 v[108:109], v[112:113], -v[60:61]
	v_add_f64 v[50:51], v[108:109], v[50:51]
	v_add_f64 v[50:51], v[50:51], -v[110:111]
	v_fmac_f64_e32 v[50:51], s[62:63], v[48:49]
	v_add_f64 v[108:109], v[60:61], v[50:51]
	v_add_f64 v[60:61], v[108:109], -v[60:61]
	v_add_f64 v[110:111], v[50:51], -v[60:61]
	v_cvt_i32_f64_e32 v60, v[48:49]
.LBB0_115:                              ;   in Loop: Header=BB0_108 Depth=2
	s_or_b64 exec, exec, s[0:1]
                                        ; implicit-def: $vgpr61
                                        ; implicit-def: $vgpr48_vgpr49
                                        ; implicit-def: $vgpr50_vgpr51
                                        ; implicit-def: $vgpr112_vgpr113
                                        ; implicit-def: $vgpr114_vgpr115
                                        ; implicit-def: $vgpr63
	s_and_saveexec_b64 s[0:1], s[4:5]
	s_xor_b64 s[4:5], exec, s[0:1]
	s_cbranch_execz .LBB0_117
; %bb.116:                              ;   in Loop: Header=BB0_108 Depth=2
	v_ldexp_f64 v[92:93], |v[106:107]|, s19
	v_cmp_ge_f64_e64 s[0:1], |v[106:107]|, s[48:49]
	v_trig_preop_f64 v[84:85], |v[106:107]|, 0
	v_trig_preop_f64 v[44:45], |v[106:107]|, 1
	v_cndmask_b32_e64 v49, v62, v93, s[0:1]
	v_cndmask_b32_e64 v48, v106, v92, s[0:1]
	v_mul_f64 v[50:51], v[84:85], v[48:49]
	v_mul_f64 v[46:47], v[44:45], v[48:49]
	v_fma_f64 v[112:113], v[84:85], v[48:49], -v[50:51]
	v_add_f64 v[114:115], v[46:47], v[112:113]
	v_add_f64 v[122:123], v[114:115], -v[46:47]
	v_add_f64 v[112:113], v[112:113], -v[122:123]
	;; [unrolled: 1-line block ×4, first 2 shown]
	v_add_f64 v[112:113], v[112:113], v[122:123]
	v_fma_f64 v[122:123], v[44:45], v[48:49], -v[46:47]
	v_trig_preop_f64 v[46:47], |v[106:107]|, 2
	v_add_f64 v[116:117], v[50:51], v[114:115]
	v_mul_f64 v[124:125], v[46:47], v[48:49]
	v_add_f64 v[64:65], v[124:125], v[122:123]
	v_add_f64 v[50:51], v[116:117], -v[50:51]
	v_add_f64 v[66:67], v[64:65], v[112:113]
	v_add_f64 v[50:51], v[114:115], -v[50:51]
	v_add_f64 v[114:115], v[50:51], v[66:67]
	v_ldexp_f64 v[118:119], v[116:117], -2
	v_add_f64 v[50:51], v[114:115], -v[50:51]
	v_add_f64 v[116:117], v[66:67], -v[64:65]
	;; [unrolled: 1-line block ×6, first 2 shown]
	v_add_f64 v[66:67], v[112:113], v[66:67]
	v_add_f64 v[112:113], v[64:65], -v[124:125]
	v_add_f64 v[64:65], v[64:65], -v[112:113]
	;; [unrolled: 1-line block ×4, first 2 shown]
	v_add_f64 v[64:65], v[116:117], v[64:65]
	v_add_f64 v[64:65], v[64:65], v[66:67]
	v_fma_f64 v[48:49], v[46:47], v[48:49], -v[124:125]
	v_fract_f64_e32 v[120:121], v[118:119]
	v_add_f64 v[48:49], v[48:49], v[64:65]
	v_add_f64 v[48:49], v[50:51], v[48:49]
	v_ldexp_f64 v[50:51], v[120:121], 2
	v_cmp_neq_f64_e64 s[0:1], |v[118:119]|, s[50:51]
	s_mov_b32 s58, s52
	s_nop 0
	v_cndmask_b32_e64 v51, 0, v51, s[0:1]
	v_cndmask_b32_e64 v50, 0, v50, s[0:1]
	v_add_f64 v[64:65], v[114:115], v[50:51]
	v_cmp_gt_f64_e64 s[0:1], 0, v[64:65]
	s_nop 1
	v_cndmask_b32_e64 v91, 0, v55, s[0:1]
	v_add_f64 v[50:51], v[50:51], v[90:91]
	v_add_f64 v[64:65], v[114:115], v[50:51]
	v_cvt_i32_f64_e32 v61, v[64:65]
	v_cvt_f64_i32_e32 v[64:65], v61
	v_add_f64 v[50:51], v[50:51], -v[64:65]
	v_add_f64 v[64:65], v[114:115], v[50:51]
	v_add_f64 v[50:51], v[64:65], -v[50:51]
	v_cmp_le_f64_e64 s[0:1], 0.5, v[64:65]
	v_add_f64 v[50:51], v[114:115], -v[50:51]
	v_add_f64 v[48:49], v[48:49], v[50:51]
	v_cndmask_b32_e64 v91, 0, v56, s[0:1]
	v_add_f64 v[50:51], v[64:65], -v[90:91]
	v_add_f64 v[64:65], v[50:51], v[48:49]
	v_add_f64 v[50:51], v[64:65], -v[50:51]
	v_add_f64 v[48:49], v[48:49], -v[50:51]
	v_mul_f64 v[50:51], v[64:65], s[52:53]
	v_fma_f64 v[66:67], v[64:65], s[52:53], -v[50:51]
	v_fmac_f64_e32 v[66:67], s[54:55], v[64:65]
	v_fmac_f64_e32 v[66:67], s[52:53], v[48:49]
	v_add_f64 v[48:49], v[50:51], v[66:67]
	v_mul_f64 v[64:65], |v[106:107]|, s[56:57]
	v_add_f64 v[50:51], v[48:49], -v[50:51]
	v_rndne_f64_e32 v[64:65], v[64:65]
	v_add_f64 v[50:51], v[66:67], -v[50:51]
	v_fma_f64 v[66:67], v[64:65], s[58:59], |v[106:107]|
	v_mul_f64 v[112:113], v[64:65], s[60:61]
	v_add_f64 v[118:119], v[66:67], v[112:113]
	v_addc_co_u32_e64 v61, s[2:3], 0, v61, s[0:1]
	v_fma_f64 v[114:115], s[60:61], v[64:65], v[66:67]
	s_mov_b32 s0, s60
	s_mov_b32 s1, s55
	v_add_f64 v[66:67], v[66:67], -v[118:119]
	v_fma_f64 v[116:117], s[0:1], v[64:65], v[112:113]
	v_add_f64 v[66:67], v[66:67], v[112:113]
	v_add_f64 v[112:113], v[118:119], -v[114:115]
	v_add_f64 v[66:67], v[112:113], v[66:67]
	v_add_f64 v[66:67], v[66:67], -v[116:117]
	v_fmac_f64_e32 v[66:67], s[62:63], v[64:65]
	v_add_f64 v[112:113], v[114:115], v[66:67]
	v_add_f64 v[114:115], v[112:113], -v[114:115]
	v_add_f64 v[114:115], v[66:67], -v[114:115]
	v_cvt_i32_f64_e32 v63, v[64:65]
	s_andn2_saveexec_b64 s[0:1], s[4:5]
	s_cbranch_execnz .LBB0_118
	s_branch .LBB0_119
.LBB0_117:                              ;   in Loop: Header=BB0_108 Depth=2
	s_andn2_saveexec_b64 s[0:1], s[4:5]
	s_cbranch_execz .LBB0_119
.LBB0_118:                              ;   in Loop: Header=BB0_108 Depth=2
	v_mul_f64 v[48:49], |v[106:107]|, s[56:57]
	v_rndne_f64_e32 v[48:49], v[48:49]
	s_mov_b32 s58, s52
	v_fma_f64 v[50:51], v[48:49], s[58:59], |v[106:107]|
	v_mul_f64 v[112:113], v[48:49], s[60:61]
	v_add_f64 v[118:119], v[50:51], v[112:113]
	v_fma_f64 v[114:115], s[60:61], v[48:49], v[50:51]
	s_mov_b32 s2, s60
	s_mov_b32 s3, s55
	v_add_f64 v[50:51], v[50:51], -v[118:119]
	v_fma_f64 v[116:117], s[2:3], v[48:49], v[112:113]
	v_add_f64 v[50:51], v[50:51], v[112:113]
	v_add_f64 v[112:113], v[118:119], -v[114:115]
	v_add_f64 v[50:51], v[112:113], v[50:51]
	v_add_f64 v[50:51], v[50:51], -v[116:117]
	v_fmac_f64_e32 v[50:51], s[62:63], v[48:49]
	v_add_f64 v[112:113], v[114:115], v[50:51]
	v_add_f64 v[114:115], v[112:113], -v[114:115]
	v_add_f64 v[114:115], v[50:51], -v[114:115]
	v_cvt_i32_f64_e32 v63, v[48:49]
	v_mov_b64_e32 v[50:51], v[114:115]
	v_mov_b64_e32 v[48:49], v[112:113]
	v_mov_b32_e32 v61, v63
.LBB0_119:                              ;   in Loop: Header=BB0_108 Depth=2
	s_or_b64 exec, exec, s[0:1]
	v_mul_f64 v[116:117], v[98:99], s[36:37]
	s_mov_b32 s2, 0
	v_fma_f64 v[64:65], v[96:97], 0, -v[116:117]
	s_mov_b32 s3, 0x3f300000
	v_fma_f64 v[64:65], v[64:65], s[2:3], 1.0
	v_mul_f64 v[64:65], v[64:65], v[64:65]
	v_mul_f64 v[64:65], v[64:65], v[64:65]
	;; [unrolled: 1-line block ×14, first 2 shown]
	v_cmp_ge_f64_e64 s[2:3], |v[106:107]|, s[48:49]
	v_fma_f64 v[120:121], v[16:17], s[92:93], -v[64:65]
	v_fmac_f64_e32 v[42:43], 0, v[16:17]
	v_cndmask_b32_e64 v17, v62, v93, s[2:3]
	v_cndmask_b32_e64 v16, v106, v92, s[2:3]
	v_mul_f64 v[64:65], v[16:17], v[84:85]
	v_add_f64 v[122:123], -v[42:43], 0
	v_mul_f64 v[42:43], v[44:45], v[16:17]
	v_fma_f64 v[66:67], v[84:85], v[16:17], -v[64:65]
	v_add_f64 v[84:85], v[42:43], v[66:67]
	v_add_f64 v[72:73], v[84:85], -v[42:43]
	v_add_f64 v[66:67], v[66:67], -v[72:73]
	;; [unrolled: 1-line block ×3, first 2 shown]
	v_add_f64 v[92:93], v[64:65], v[84:85]
	v_add_f64 v[72:73], v[42:43], -v[72:73]
	v_fma_f64 v[42:43], v[44:45], v[16:17], -v[42:43]
	v_mul_f64 v[44:45], v[46:47], v[16:17]
	v_add_f64 v[66:67], v[66:67], v[72:73]
	v_add_f64 v[72:73], v[44:45], v[42:43]
	v_add_f64 v[64:65], v[92:93], -v[64:65]
	v_add_f64 v[76:77], v[72:73], v[66:67]
	v_add_f64 v[64:65], v[84:85], -v[64:65]
	v_add_f64 v[84:85], v[64:65], v[76:77]
	v_ldexp_f64 v[68:69], v[92:93], -2
	v_add_f64 v[64:65], v[84:85], -v[64:65]
	v_add_f64 v[92:93], v[76:77], -v[72:73]
	;; [unrolled: 1-line block ×6, first 2 shown]
	v_add_f64 v[66:67], v[66:67], v[76:77]
	v_add_f64 v[76:77], v[72:73], -v[44:45]
	v_add_f64 v[72:73], v[72:73], -v[76:77]
	;; [unrolled: 1-line block ×4, first 2 shown]
	v_add_f64 v[42:43], v[42:43], v[72:73]
	v_fract_f64_e32 v[70:71], v[68:69]
	v_add_f64 v[42:43], v[42:43], v[66:67]
	v_fma_f64 v[16:17], v[46:47], v[16:17], -v[44:45]
	v_add_f64 v[16:17], v[16:17], v[42:43]
	v_ldexp_f64 v[42:43], v[70:71], 2
	v_cmp_neq_f64_e64 s[2:3], |v[68:69]|, s[50:51]
	v_add_f64 v[16:17], v[64:65], v[16:17]
	v_mov_b64_e32 v[66:67], v[24:25]
	v_cndmask_b32_e64 v43, 0, v43, s[2:3]
	v_cndmask_b32_e64 v42, 0, v42, s[2:3]
	v_add_f64 v[44:45], v[84:85], v[42:43]
	v_cmp_gt_f64_e64 s[2:3], 0, v[44:45]
	v_mov_b64_e32 v[68:69], v[26:27]
	v_cmp_class_f64_e64 s[0:1], v[106:107], s96
	v_cndmask_b32_e64 v91, 0, v55, s[2:3]
	v_add_f64 v[42:43], v[42:43], v[90:91]
	v_add_f64 v[44:45], v[84:85], v[42:43]
	v_cvt_i32_f64_e32 v46, v[44:45]
	v_cvt_f64_i32_e32 v[44:45], v46
	v_add_f64 v[42:43], v[42:43], -v[44:45]
	v_add_f64 v[44:45], v[84:85], v[42:43]
	v_add_f64 v[42:43], v[44:45], -v[42:43]
	v_cmp_le_f64_e64 s[2:3], 0.5, v[44:45]
	v_add_f64 v[42:43], v[84:85], -v[42:43]
	v_add_f64 v[16:17], v[16:17], v[42:43]
	v_cndmask_b32_e64 v91, 0, v56, s[2:3]
	v_add_f64 v[42:43], v[44:45], -v[90:91]
	v_add_f64 v[44:45], v[42:43], v[16:17]
	v_add_f64 v[42:43], v[44:45], -v[42:43]
	v_add_f64 v[16:17], v[16:17], -v[42:43]
	v_mul_f64 v[42:43], v[44:45], s[52:53]
	v_addc_co_u32_e64 v62, s[4:5], 0, v46, s[2:3]
	v_fma_f64 v[46:47], v[44:45], s[52:53], -v[42:43]
	v_fmac_f64_e32 v[46:47], s[54:55], v[44:45]
	v_fmac_f64_e32 v[46:47], s[52:53], v[16:17]
	v_add_f64 v[16:17], v[42:43], v[46:47]
	v_add_f64 v[42:43], v[16:17], -v[42:43]
	v_cndmask_b32_e32 v70, v62, v63, vcc
	v_add_f64 v[42:43], v[46:47], -v[42:43]
	v_cndmask_b32_e32 v17, v17, v113, vcc
	v_cndmask_b32_e32 v16, v16, v112, vcc
	v_and_b32_e32 v44, 1, v70
	v_cndmask_b32_e32 v43, v43, v115, vcc
	v_cndmask_b32_e32 v42, v42, v114, vcc
	v_cmp_eq_u32_e32 vcc, 0, v44
	v_mul_f64 v[44:45], v[16:17], v[16:17]
	v_fmac_f64_e32 v[66:67], s[66:67], v[44:45]
	v_fmac_f64_e32 v[68:69], v[44:45], v[66:67]
	v_mov_b64_e32 v[66:67], v[28:29]
	v_mul_f64 v[46:47], v[44:45], 0.5
	v_fmac_f64_e32 v[66:67], v[44:45], v[68:69]
	v_mov_b64_e32 v[68:69], v[30:31]
	v_add_f64 v[62:63], -v[46:47], 1.0
	v_fmac_f64_e32 v[68:69], v[44:45], v[66:67]
	v_mov_b64_e32 v[66:67], v[32:33]
	v_fmac_f64_e32 v[66:67], v[44:45], v[68:69]
	v_add_f64 v[68:69], -v[62:63], 1.0
	v_add_f64 v[46:47], v[68:69], -v[46:47]
	v_mul_f64 v[64:65], v[44:45], v[44:45]
	v_fma_f64 v[46:47], v[16:17], -v[42:43], v[46:47]
	v_fmac_f64_e32 v[46:47], v[64:65], v[66:67]
	v_mov_b64_e32 v[64:65], v[34:35]
	v_fmac_f64_e32 v[64:65], s[80:81], v[44:45]
	v_mov_b64_e32 v[66:67], v[36:37]
	;; [unrolled: 2-line block ×4, first 2 shown]
	v_add_f64 v[46:47], v[62:63], v[46:47]
	v_mul_f64 v[62:63], v[16:17], -v[44:45]
	v_fmac_f64_e32 v[66:67], v[44:45], v[64:65]
	v_mul_f64 v[64:65], v[42:43], 0.5
	v_fmac_f64_e32 v[64:65], v[62:63], v[66:67]
	v_fma_f64 v[42:43], v[44:45], v[64:65], -v[42:43]
	v_fmac_f64_e32 v[42:43], s[76:77], v[62:63]
	v_add_f64 v[16:17], v[16:17], -v[42:43]
	v_xor_b32_e32 v42, 0x80000000, v17
	v_cndmask_b32_e32 v42, v42, v47, vcc
	v_lshlrev_b32_e32 v62, 30, v70
	v_bitop3_b32 v42, v42, v62, s33 bitop3:0x78
	v_cndmask_b32_e64 v45, v57, v42, s[0:1]
	v_cndmask_b32_e32 v17, v47, v17, vcc
	v_xor_b32_e32 v42, v62, v107
	v_cndmask_b32_e32 v43, v16, v46, vcc
	v_cndmask_b32_e32 v16, v46, v16, vcc
	v_bitop3_b32 v17, v17, v42, s33 bitop3:0x78
	v_cndmask_b32_e64 v16, 0, v16, s[0:1]
	v_cndmask_b32_e64 v17, v57, v17, s[0:1]
	;; [unrolled: 1-line block ×3, first 2 shown]
	v_mul_f64 v[42:43], v[16:17], 0
	v_fma_f64 v[84:85], v[118:119], v[44:45], -v[42:43]
	v_mul_f64 v[42:43], v[118:119], v[16:17]
	v_fmac_f64_e32 v[42:43], 0, v[44:45]
	s_mov_b64 s[16:17], 0
	v_mul_f64 v[124:125], v[122:123], v[122:123]
	v_mul_f64 v[44:45], v[42:43], 0
	;; [unrolled: 1-line block ×3, first 2 shown]
	v_mov_b64_e32 v[16:17], 0
	v_mov_b64_e32 v[92:93], 0
.LBB0_120:                              ;   Parent Loop BB0_34 Depth=1
                                        ;     Parent Loop BB0_108 Depth=2
                                        ; =>    This Inner Loop Header: Depth=3
	s_getpc_b64 s[2:3]
	s_add_u32 s2, s2, __const._Z14fast_nuclear_W9RSComplex.neg_1n@rel32@lo+4
	s_addc_u32 s3, s3, __const._Z14fast_nuclear_W9RSComplex.neg_1n@rel32@hi+12
	s_add_u32 s2, s2, s16
	s_addc_u32 s3, s3, s17
	s_load_dwordx4 s[20:23], s[2:3], 0x0
	s_getpc_b64 s[2:3]
	s_add_u32 s2, s2, __const._Z14fast_nuclear_W9RSComplex.denominator_left@rel32@lo+4
	s_addc_u32 s3, s3, __const._Z14fast_nuclear_W9RSComplex.denominator_left@rel32@hi+12
	s_add_u32 s2, s2, s16
	s_addc_u32 s3, s3, s17
	s_load_dwordx4 s[28:31], s[2:3], 0x0
	s_waitcnt lgkmcnt(0)
	v_fma_f64 v[62:63], v[84:85], s[20:21], -v[44:45]
	v_add_f64 v[62:63], v[62:63], -1.0
	s_getpc_b64 s[2:3]
	s_add_u32 s2, s2, __const._Z14fast_nuclear_W9RSComplex.an@rel32@lo+4
	s_addc_u32 s3, s3, __const._Z14fast_nuclear_W9RSComplex.an@rel32@hi+12
	v_fma_f64 v[64:65], s[20:21], v[42:43], v[46:47]
	v_add_f64 v[66:67], s[28:29], -v[120:121]
	s_add_u32 s2, s2, s16
	v_mul_f64 v[70:71], v[66:67], v[62:63]
	s_addc_u32 s3, s3, s17
	v_fma_f64 v[68:69], v[66:67], v[66:67], v[124:125]
	v_fmac_f64_e32 v[70:71], v[122:123], v[64:65]
	s_load_dwordx4 s[24:27], s[2:3], 0x0
	v_div_scale_f64 v[72:73], s[2:3], v[68:69], v[68:69], v[70:71]
	v_rcp_f64_e32 v[76:77], v[72:73]
	v_mul_f64 v[62:63], v[122:123], v[62:63]
	v_fma_f64 v[62:63], v[66:67], v[64:65], -v[62:63]
	v_div_scale_f64 v[64:65], s[2:3], v[68:69], v[68:69], v[62:63]
	v_fma_f64 v[112:113], -v[72:73], v[76:77], 1.0
	v_fmac_f64_e32 v[76:77], v[76:77], v[112:113]
	v_fma_f64 v[112:113], -v[72:73], v[76:77], 1.0
	v_fmac_f64_e32 v[76:77], v[76:77], v[112:113]
	v_div_scale_f64 v[112:113], vcc, v[70:71], v[68:69], v[70:71]
	v_rcp_f64_e32 v[66:67], v[64:65]
	v_mul_f64 v[114:115], v[112:113], v[76:77]
	v_fma_f64 v[72:73], -v[72:73], v[114:115], v[112:113]
	s_nop 0
	v_div_fmas_f64 v[72:73], v[72:73], v[76:77], v[114:115]
	v_div_fixup_f64 v[70:71], v[72:73], v[68:69], v[70:71]
	v_fma_f64 v[72:73], -v[64:65], v[66:67], 1.0
	v_fmac_f64_e32 v[66:67], v[66:67], v[72:73]
	v_fma_f64 v[72:73], -v[64:65], v[66:67], 1.0
	v_fmac_f64_e32 v[66:67], v[66:67], v[72:73]
	v_div_scale_f64 v[72:73], vcc, v[62:63], v[68:69], v[62:63]
	v_mul_f64 v[76:77], v[72:73], v[66:67]
	v_fma_f64 v[64:65], -v[64:65], v[76:77], v[72:73]
	s_add_u32 s16, s16, 16
	s_nop 0
	v_div_fmas_f64 v[64:65], v[64:65], v[66:67], v[76:77]
	v_div_fixup_f64 v[62:63], v[64:65], v[68:69], v[62:63]
	v_mul_f64 v[64:65], v[62:63], 0
	s_waitcnt lgkmcnt(0)
	v_fma_f64 v[64:65], s[24:25], v[70:71], -v[64:65]
	v_add_f64 v[16:17], v[16:17], v[64:65]
	v_fma_f64 v[64:65], v[84:85], s[22:23], -v[44:45]
	v_add_f64 v[64:65], v[64:65], -1.0
	v_add_f64 v[68:69], s[30:31], -v[120:121]
	v_mul_f64 v[62:63], s[24:25], v[62:63]
	v_fma_f64 v[66:67], s[22:23], v[42:43], v[46:47]
	v_mul_f64 v[72:73], v[68:69], v[64:65]
	v_fmac_f64_e32 v[62:63], 0, v[70:71]
	v_fma_f64 v[70:71], v[68:69], v[68:69], v[124:125]
	v_fmac_f64_e32 v[72:73], v[122:123], v[66:67]
	v_div_scale_f64 v[76:77], s[2:3], v[70:71], v[70:71], v[72:73]
	v_add_f64 v[62:63], v[92:93], v[62:63]
	v_rcp_f64_e32 v[92:93], v[76:77]
	v_mul_f64 v[64:65], v[122:123], v[64:65]
	v_fma_f64 v[64:65], v[68:69], v[66:67], -v[64:65]
	v_div_scale_f64 v[66:67], s[2:3], v[70:71], v[70:71], v[64:65]
	v_fma_f64 v[112:113], -v[76:77], v[92:93], 1.0
	v_fmac_f64_e32 v[92:93], v[92:93], v[112:113]
	v_fma_f64 v[112:113], -v[76:77], v[92:93], 1.0
	v_fmac_f64_e32 v[92:93], v[92:93], v[112:113]
	v_div_scale_f64 v[112:113], vcc, v[72:73], v[70:71], v[72:73]
	v_rcp_f64_e32 v[68:69], v[66:67]
	v_mul_f64 v[114:115], v[112:113], v[92:93]
	v_fma_f64 v[76:77], -v[76:77], v[114:115], v[112:113]
	s_nop 0
	v_div_fmas_f64 v[76:77], v[76:77], v[92:93], v[114:115]
	v_div_fixup_f64 v[72:73], v[76:77], v[70:71], v[72:73]
	v_fma_f64 v[76:77], -v[66:67], v[68:69], 1.0
	v_fmac_f64_e32 v[68:69], v[68:69], v[76:77]
	v_fma_f64 v[76:77], -v[66:67], v[68:69], 1.0
	v_fmac_f64_e32 v[68:69], v[68:69], v[76:77]
	v_div_scale_f64 v[76:77], vcc, v[64:65], v[70:71], v[64:65]
	v_mul_f64 v[92:93], v[76:77], v[68:69]
	v_fma_f64 v[66:67], -v[66:67], v[92:93], v[76:77]
	s_addc_u32 s17, s17, 0
	s_nop 0
	v_div_fmas_f64 v[66:67], v[66:67], v[68:69], v[92:93]
	v_div_fixup_f64 v[64:65], v[66:67], v[70:71], v[64:65]
	v_mul_f64 v[66:67], v[64:65], 0
	v_mul_f64 v[64:65], s[26:27], v[64:65]
	v_fma_f64 v[66:67], s[26:27], v[72:73], -v[66:67]
	v_fmac_f64_e32 v[64:65], 0, v[72:73]
	v_add_f64 v[16:17], v[16:17], v[66:67]
	v_add_f64 v[92:93], v[62:63], v[64:65]
	s_cmpk_eq_i32 s16, 0x50
	s_cbranch_scc0 .LBB0_120
; %bb.121:                              ;   in Loop: Header=BB0_108 Depth=2
	v_and_b32_e32 v42, 1, v60
	v_cmp_eq_u32_e32 vcc, 0, v42
	v_mul_f64 v[42:43], v[108:109], v[108:109]
	v_mov_b64_e32 v[64:65], s[64:65]
	v_mul_f64 v[44:45], v[42:43], 0.5
	v_fma_f64 v[66:67], s[66:67], v[42:43], v[64:65]
	v_add_f64 v[46:47], -v[44:45], 1.0
	v_fma_f64 v[66:67], v[42:43], v[66:67], s[68:69]
	v_fma_f64 v[66:67], v[42:43], v[66:67], s[70:71]
	v_add_f64 v[68:69], -v[46:47], 1.0
	v_fma_f64 v[66:67], v[42:43], v[66:67], s[72:73]
	s_mov_b32 s74, s76
	v_add_f64 v[44:45], v[68:69], -v[44:45]
	v_mul_f64 v[62:63], v[42:43], v[42:43]
	v_fma_f64 v[66:67], v[42:43], v[66:67], s[74:75]
	v_fma_f64 v[44:45], v[108:109], -v[110:111], v[44:45]
	v_fmac_f64_e32 v[44:45], v[62:63], v[66:67]
	v_mov_b64_e32 v[62:63], s[78:79]
	v_fma_f64 v[66:67], s[80:81], v[42:43], v[62:63]
	v_fma_f64 v[66:67], v[42:43], v[66:67], s[82:83]
	v_fma_f64 v[66:67], v[42:43], v[66:67], s[84:85]
	v_add_f64 v[44:45], v[46:47], v[44:45]
	v_mul_f64 v[46:47], v[108:109], -v[42:43]
	v_fma_f64 v[66:67], v[42:43], v[66:67], s[86:87]
	v_mul_f64 v[68:69], v[110:111], 0.5
	v_fmac_f64_e32 v[68:69], v[46:47], v[66:67]
	v_fma_f64 v[42:43], v[42:43], v[68:69], -v[110:111]
	v_fmac_f64_e32 v[42:43], s[76:77], v[46:47]
	v_add_f64 v[42:43], v[108:109], -v[42:43]
	v_xor_b32_e32 v43, 0x80000000, v43
	v_cndmask_b32_e32 v42, v42, v44, vcc
	v_cndmask_b32_e32 v43, v43, v45, vcc
	v_lshlrev_b32_e32 v44, 30, v60
	v_bitop3_b32 v43, v43, v44, s33 bitop3:0x78
	v_mul_f64 v[44:45], v[48:49], v[48:49]
	v_mul_f64 v[46:47], v[44:45], 0.5
	v_fmac_f64_e32 v[64:65], s[66:67], v[44:45]
	v_add_f64 v[66:67], -v[46:47], 1.0
	v_fma_f64 v[64:65], v[44:45], v[64:65], s[68:69]
	v_add_f64 v[68:69], -v[66:67], 1.0
	v_fma_f64 v[64:65], v[44:45], v[64:65], s[70:71]
	v_add_f64 v[46:47], v[68:69], -v[46:47]
	v_fma_f64 v[64:65], v[44:45], v[64:65], s[72:73]
	v_fmac_f64_e32 v[62:63], s[80:81], v[44:45]
	v_mul_f64 v[68:69], v[44:45], v[44:45]
	v_fma_f64 v[64:65], v[44:45], v[64:65], s[74:75]
	v_fma_f64 v[46:47], v[48:49], -v[50:51], v[46:47]
	v_fma_f64 v[62:63], v[44:45], v[62:63], s[82:83]
	v_fmac_f64_e32 v[46:47], v[68:69], v[64:65]
	v_fma_f64 v[62:63], v[44:45], v[62:63], s[84:85]
	v_add_f64 v[46:47], v[66:67], v[46:47]
	v_fma_f64 v[62:63], v[44:45], v[62:63], s[86:87]
	v_mul_f64 v[64:65], v[48:49], -v[44:45]
	v_mul_f64 v[66:67], v[50:51], 0.5
	v_fmac_f64_e32 v[66:67], v[64:65], v[62:63]
	v_fma_f64 v[44:45], v[44:45], v[66:67], -v[50:51]
	v_fmac_f64_e32 v[44:45], s[76:77], v[64:65]
	v_add_f64 v[44:45], v[48:49], -v[44:45]
	v_and_b32_e32 v48, 1, v61
	v_cmp_eq_u32_e32 vcc, 0, v48
	v_cndmask_b32_e64 v42, 0, v42, s[0:1]
	v_cndmask_b32_e64 v43, v57, v43, s[0:1]
	v_cndmask_b32_e32 v44, v46, v44, vcc
	v_lshlrev_b32_e32 v46, 30, v61
	v_cndmask_b32_e32 v45, v47, v45, vcc
	v_xor_b32_e32 v46, v46, v107
	v_bitop3_b32 v45, v45, v46, s33 bitop3:0x78
	v_cndmask_b32_e64 v44, 0, v44, s[0:1]
	v_cndmask_b32_e64 v45, v57, v45, s[0:1]
	v_mul_f64 v[46:47], v[118:119], v[42:43]
	v_mul_f64 v[48:49], v[118:119], v[44:45]
	v_fmac_f64_e32 v[48:49], 0, v[42:43]
	v_fma_f64 v[42:43], v[44:45], 0, -v[46:47]
	v_add_f64 v[42:43], v[42:43], 1.0
	v_add_f64 v[44:45], -v[48:49], 0
	v_mul_f64 v[48:49], v[96:97], 0
	v_fma_f64 v[46:47], 0, v[44:45], v[42:43]
	v_add_f64 v[48:49], v[48:49], v[116:117]
	v_fma_f64 v[42:43], v[42:43], 0, -v[44:45]
	v_mul_f64 v[44:45], v[96:97], s[36:37]
	v_mul_f64 v[50:51], v[48:49], v[46:47]
	v_add_f64 v[44:45], v[44:45], -v[100:101]
	v_fmac_f64_e32 v[50:51], v[44:45], v[42:43]
	v_mul_f64 v[42:43], v[48:49], v[42:43]
	v_mul_f64 v[48:49], v[48:49], v[48:49]
	v_fmac_f64_e32 v[48:49], v[44:45], v[44:45]
	v_fma_f64 v[42:43], v[44:45], v[46:47], -v[42:43]
	v_div_scale_f64 v[44:45], s[0:1], v[48:49], v[48:49], v[50:51]
	v_rcp_f64_e32 v[46:47], v[44:45]
	s_nop 0
	v_fma_f64 v[60:61], -v[44:45], v[46:47], 1.0
	v_fmac_f64_e32 v[46:47], v[46:47], v[60:61]
	v_fma_f64 v[60:61], -v[44:45], v[46:47], 1.0
	v_fmac_f64_e32 v[46:47], v[46:47], v[60:61]
	v_div_scale_f64 v[60:61], vcc, v[50:51], v[48:49], v[50:51]
	v_mul_f64 v[62:63], v[60:61], v[46:47]
	v_fma_f64 v[44:45], -v[44:45], v[62:63], v[60:61]
	s_nop 1
	v_div_fmas_f64 v[44:45], v[44:45], v[46:47], v[62:63]
	v_div_scale_f64 v[46:47], s[0:1], v[48:49], v[48:49], v[42:43]
	v_div_fixup_f64 v[44:45], v[44:45], v[48:49], v[50:51]
	v_rcp_f64_e32 v[50:51], v[46:47]
	s_nop 0
	v_fma_f64 v[60:61], -v[46:47], v[50:51], 1.0
	v_fmac_f64_e32 v[50:51], v[50:51], v[60:61]
	v_fma_f64 v[60:61], -v[46:47], v[50:51], 1.0
	v_fmac_f64_e32 v[50:51], v[50:51], v[60:61]
	v_div_scale_f64 v[60:61], vcc, v[42:43], v[48:49], v[42:43]
	v_mul_f64 v[62:63], v[60:61], v[50:51]
	v_fma_f64 v[46:47], -v[46:47], v[62:63], v[60:61]
	s_nop 1
	v_div_fmas_f64 v[46:47], v[46:47], v[50:51], v[62:63]
	v_div_fixup_f64 v[42:43], v[46:47], v[48:49], v[42:43]
	v_mul_f64 v[46:47], v[98:99], v[92:93]
	v_fma_f64 v[46:47], v[96:97], v[16:17], -v[46:47]
	v_mul_f64 v[16:17], v[98:99], v[16:17]
	v_fmac_f64_e32 v[16:17], v[96:97], v[92:93]
	v_mul_f64 v[48:49], v[16:17], s[12:13]
	v_mul_f64 v[16:17], v[16:17], 0
	v_fma_f64 v[48:49], v[46:47], 0, -v[48:49]
	v_fmac_f64_e32 v[16:17], s[12:13], v[46:47]
	v_add_f64 v[46:47], v[44:45], v[48:49]
	v_add_f64 v[44:45], v[42:43], v[16:17]
	s_branch .LBB0_107
.LBB0_122:
	s_or_b64 exec, exec, s[44:45]
	scratch_load_dwordx2 v[12:13], off, off offset:216 ; 8-byte Folded Reload
	v_readlane_b32 s4, v127, 8
	v_readlane_b32 s5, v127, 9
.LBB0_123:
	s_or_b64 exec, exec, s[4:5]
	s_mov_b32 s0, -1
	v_max_f64 v[0:1], v[88:89], v[88:89]
	s_mov_b32 s1, 0xffefffff
	v_max_f64 v[0:1], v[0:1], s[0:1]
	v_cmp_gt_f64_e32 vcc, v[86:87], v[0:1]
	s_nop 1
	v_cndmask_b32_e32 v1, v1, v87, vcc
	v_cndmask_b32_e32 v0, v0, v86, vcc
	v_cmp_gt_f64_e64 s[0:1], v[82:83], v[0:1]
	v_cndmask_b32_e64 v2, 1, 2, vcc
	s_nop 0
	v_cndmask_b32_e64 v1, v1, v83, s[0:1]
	v_cndmask_b32_e64 v0, v0, v82, s[0:1]
	;; [unrolled: 1-line block ×3, first 2 shown]
	v_cmp_ngt_f64_e32 vcc, v[74:75], v[0:1]
	s_waitcnt vmcnt(0)
	v_lshl_add_u64 v[0:1], v[12:13], 2, s[10:11]
	v_cndmask_b32_e32 v2, 4, v2, vcc
	global_store_dword v[0:1], v2, off
.LBB0_124:
	s_endpgm
	.section	.rodata,"a",@progbits
	.p2align	6, 0x0
	.amdhsa_kernel _Z6lookupPKiPKdS0_PiS0_S2_PK6WindowPK4Poleiiiiii
		.amdhsa_group_segment_fixed_size 65536
		.amdhsa_private_segment_fixed_size 240
		.amdhsa_kernarg_size 344
		.amdhsa_user_sgpr_count 4
		.amdhsa_user_sgpr_dispatch_ptr 1
		.amdhsa_user_sgpr_queue_ptr 0
		.amdhsa_user_sgpr_kernarg_segment_ptr 1
		.amdhsa_user_sgpr_dispatch_id 0
		.amdhsa_user_sgpr_kernarg_preload_length 0
		.amdhsa_user_sgpr_kernarg_preload_offset 0
		.amdhsa_user_sgpr_private_segment_size 0
		.amdhsa_uses_dynamic_stack 0
		.amdhsa_enable_private_segment 1
		.amdhsa_system_sgpr_workgroup_id_x 1
		.amdhsa_system_sgpr_workgroup_id_y 0
		.amdhsa_system_sgpr_workgroup_id_z 0
		.amdhsa_system_sgpr_workgroup_info 0
		.amdhsa_system_vgpr_workitem_id 2
		.amdhsa_next_free_vgpr 128
		.amdhsa_next_free_sgpr 100
		.amdhsa_accum_offset 128
		.amdhsa_reserve_vcc 1
		.amdhsa_float_round_mode_32 0
		.amdhsa_float_round_mode_16_64 0
		.amdhsa_float_denorm_mode_32 3
		.amdhsa_float_denorm_mode_16_64 3
		.amdhsa_dx10_clamp 1
		.amdhsa_ieee_mode 1
		.amdhsa_fp16_overflow 0
		.amdhsa_tg_split 0
		.amdhsa_exception_fp_ieee_invalid_op 0
		.amdhsa_exception_fp_denorm_src 0
		.amdhsa_exception_fp_ieee_div_zero 0
		.amdhsa_exception_fp_ieee_overflow 0
		.amdhsa_exception_fp_ieee_underflow 0
		.amdhsa_exception_fp_ieee_inexact 0
		.amdhsa_exception_int_div_zero 0
	.end_amdhsa_kernel
	.text
.Lfunc_end0:
	.size	_Z6lookupPKiPKdS0_PiS0_S2_PK6WindowPK4Poleiiiiii, .Lfunc_end0-_Z6lookupPKiPKdS0_PiS0_S2_PK6WindowPK4Poleiiiiii
                                        ; -- End function
	.set _Z6lookupPKiPKdS0_PiS0_S2_PK6WindowPK4Poleiiiiii.num_vgpr, 128
	.set _Z6lookupPKiPKdS0_PiS0_S2_PK6WindowPK4Poleiiiiii.num_agpr, 0
	.set _Z6lookupPKiPKdS0_PiS0_S2_PK6WindowPK4Poleiiiiii.numbered_sgpr, 100
	.set _Z6lookupPKiPKdS0_PiS0_S2_PK6WindowPK4Poleiiiiii.num_named_barrier, 0
	.set _Z6lookupPKiPKdS0_PiS0_S2_PK6WindowPK4Poleiiiiii.private_seg_size, 240
	.set _Z6lookupPKiPKdS0_PiS0_S2_PK6WindowPK4Poleiiiiii.uses_vcc, 1
	.set _Z6lookupPKiPKdS0_PiS0_S2_PK6WindowPK4Poleiiiiii.uses_flat_scratch, 0
	.set _Z6lookupPKiPKdS0_PiS0_S2_PK6WindowPK4Poleiiiiii.has_dyn_sized_stack, 0
	.set _Z6lookupPKiPKdS0_PiS0_S2_PK6WindowPK4Poleiiiiii.has_recursion, 0
	.set _Z6lookupPKiPKdS0_PiS0_S2_PK6WindowPK4Poleiiiiii.has_indirect_call, 0
	.section	.AMDGPU.csdata,"",@progbits
; Kernel info:
; codeLenInByte = 28052
; TotalNumSgprs: 106
; NumVgprs: 128
; NumAgprs: 0
; TotalNumVgprs: 128
; ScratchSize: 240
; MemoryBound: 1
; FloatMode: 240
; IeeeMode: 1
; LDSByteSize: 65536 bytes/workgroup (compile time only)
; SGPRBlocks: 13
; VGPRBlocks: 15
; NumSGPRsForWavesPerEU: 106
; NumVGPRsForWavesPerEU: 128
; AccumOffset: 128
; Occupancy: 4
; WaveLimiterHint : 1
; COMPUTE_PGM_RSRC2:SCRATCH_EN: 1
; COMPUTE_PGM_RSRC2:USER_SGPR: 4
; COMPUTE_PGM_RSRC2:TRAP_HANDLER: 0
; COMPUTE_PGM_RSRC2:TGID_X_EN: 1
; COMPUTE_PGM_RSRC2:TGID_Y_EN: 0
; COMPUTE_PGM_RSRC2:TGID_Z_EN: 0
; COMPUTE_PGM_RSRC2:TIDIG_COMP_CNT: 2
; COMPUTE_PGM_RSRC3_GFX90A:ACCUM_OFFSET: 31
; COMPUTE_PGM_RSRC3_GFX90A:TG_SPLIT: 0
	.text
	.p2alignl 6, 3212836864
	.fill 256, 4, 3212836864
	.section	.AMDGPU.gpr_maximums,"",@progbits
	.set amdgpu.max_num_vgpr, 0
	.set amdgpu.max_num_agpr, 0
	.set amdgpu.max_num_sgpr, 0
	.text
	.type	__const._Z14fast_nuclear_W9RSComplex.an,@object ; @__const._Z14fast_nuclear_W9RSComplex.an
	.section	.rodata,"a",@progbits
	.p2align	4, 0x0
__const._Z14fast_nuclear_W9RSComplex.an:
	.quad	0x3fd1a75da77b03ac              ; double 0.27584019999999998
	.quad	0x3fccbed740c4156e              ; double 0.224574
	;; [unrolled: 1-line block ×9, first 2 shown]
	.quad	0x3f346e6a1e8a624d              ; double 3.1175700000000002E-4
	.size	__const._Z14fast_nuclear_W9RSComplex.an, 80

	.type	__const._Z14fast_nuclear_W9RSComplex.neg_1n,@object ; @__const._Z14fast_nuclear_W9RSComplex.neg_1n
	.p2align	4, 0x0
__const._Z14fast_nuclear_W9RSComplex.neg_1n:
	.quad	0xbff0000000000000              ; double -1
	.quad	0x3ff0000000000000              ; double 1
	.quad	0xbff0000000000000              ; double -1
	.quad	0x3ff0000000000000              ; double 1
	;; [unrolled: 2-line block ×5, first 2 shown]
	.size	__const._Z14fast_nuclear_W9RSComplex.neg_1n, 80

	.type	__const._Z14fast_nuclear_W9RSComplex.denominator_left,@object ; @__const._Z14fast_nuclear_W9RSComplex.denominator_left
	.p2align	4, 0x0
__const._Z14fast_nuclear_W9RSComplex.denominator_left:
	.quad	0x4023bd3cbc48f10b              ; double 9.8696040000000007
	.quad	0x4043bd3cddd6e04c              ; double 39.47842
	;; [unrolled: 1-line block ×10, first 2 shown]
	.size	__const._Z14fast_nuclear_W9RSComplex.denominator_left, 80

	.type	__hip_cuid_2f358bfcc803ddd3,@object ; @__hip_cuid_2f358bfcc803ddd3
	.section	.bss,"aw",@nobits
	.globl	__hip_cuid_2f358bfcc803ddd3
__hip_cuid_2f358bfcc803ddd3:
	.byte	0                               ; 0x0
	.size	__hip_cuid_2f358bfcc803ddd3, 1

	.ident	"AMD clang version 22.0.0git (https://github.com/RadeonOpenCompute/llvm-project roc-7.2.4 26084 f58b06dce1f9c15707c5f808fd002e18c2accf7e)"
	.section	".note.GNU-stack","",@progbits
	.addrsig
	.addrsig_sym __hip_cuid_2f358bfcc803ddd3
	.amdgpu_metadata
---
amdhsa.kernels:
  - .agpr_count:     0
    .args:
      - .actual_access:  read_only
        .address_space:  global
        .offset:         0
        .size:           8
        .value_kind:     global_buffer
      - .actual_access:  read_only
        .address_space:  global
        .offset:         8
        .size:           8
        .value_kind:     global_buffer
      - .actual_access:  read_only
        .address_space:  global
        .offset:         16
        .size:           8
        .value_kind:     global_buffer
      - .actual_access:  write_only
        .address_space:  global
        .offset:         24
        .size:           8
        .value_kind:     global_buffer
      - .actual_access:  read_only
        .address_space:  global
        .offset:         32
        .size:           8
        .value_kind:     global_buffer
      - .actual_access:  read_only
        .address_space:  global
        .offset:         40
        .size:           8
        .value_kind:     global_buffer
      - .actual_access:  read_only
        .address_space:  global
        .offset:         48
        .size:           8
        .value_kind:     global_buffer
      - .actual_access:  read_only
        .address_space:  global
        .offset:         56
        .size:           8
        .value_kind:     global_buffer
      - .offset:         64
        .size:           4
        .value_kind:     by_value
      - .offset:         68
        .size:           4
        .value_kind:     by_value
      - .offset:         72
        .size:           4
        .value_kind:     by_value
      - .offset:         76
        .size:           4
        .value_kind:     by_value
      - .offset:         80
        .size:           4
        .value_kind:     by_value
      - .offset:         84
        .size:           4
        .value_kind:     by_value
      - .offset:         88
        .size:           4
        .value_kind:     hidden_block_count_x
      - .offset:         92
        .size:           4
        .value_kind:     hidden_block_count_y
      - .offset:         96
        .size:           4
        .value_kind:     hidden_block_count_z
      - .offset:         100
        .size:           2
        .value_kind:     hidden_group_size_x
      - .offset:         102
        .size:           2
        .value_kind:     hidden_group_size_y
      - .offset:         104
        .size:           2
        .value_kind:     hidden_group_size_z
      - .offset:         106
        .size:           2
        .value_kind:     hidden_remainder_x
      - .offset:         108
        .size:           2
        .value_kind:     hidden_remainder_y
      - .offset:         110
        .size:           2
        .value_kind:     hidden_remainder_z
      - .offset:         128
        .size:           8
        .value_kind:     hidden_global_offset_x
      - .offset:         136
        .size:           8
        .value_kind:     hidden_global_offset_y
      - .offset:         144
        .size:           8
        .value_kind:     hidden_global_offset_z
      - .offset:         152
        .size:           2
        .value_kind:     hidden_grid_dims
    .group_segment_fixed_size: 65536
    .kernarg_segment_align: 8
    .kernarg_segment_size: 344
    .language:       OpenCL C
    .language_version:
      - 2
      - 0
    .max_flat_workgroup_size: 1024
    .name:           _Z6lookupPKiPKdS0_PiS0_S2_PK6WindowPK4Poleiiiiii
    .private_segment_fixed_size: 240
    .sgpr_count:     106
    .sgpr_spill_count: 12
    .symbol:         _Z6lookupPKiPKdS0_PiS0_S2_PK6WindowPK4Poleiiiiii.kd
    .uniform_work_group_size: 1
    .uses_dynamic_stack: false
    .vgpr_count:     128
    .vgpr_spill_count: 40
    .wavefront_size: 64
amdhsa.target:   amdgcn-amd-amdhsa--gfx950
amdhsa.version:
  - 1
  - 2
...

	.end_amdgpu_metadata
